;; amdgpu-corpus repo=ROCm/rocFFT kind=compiled arch=gfx906 opt=O3
	.text
	.amdgcn_target "amdgcn-amd-amdhsa--gfx906"
	.amdhsa_code_object_version 6
	.protected	bluestein_single_fwd_len270_dim1_half_op_CI_CI ; -- Begin function bluestein_single_fwd_len270_dim1_half_op_CI_CI
	.globl	bluestein_single_fwd_len270_dim1_half_op_CI_CI
	.p2align	8
	.type	bluestein_single_fwd_len270_dim1_half_op_CI_CI,@function
bluestein_single_fwd_len270_dim1_half_op_CI_CI: ; @bluestein_single_fwd_len270_dim1_half_op_CI_CI
; %bb.0:
	s_load_dwordx4 s[8:11], s[4:5], 0x28
	v_mul_u32_u24_e32 v1, 0x97c, v0
	v_lshrrev_b32_e32 v3, 16, v1
	v_lshl_add_u32 v1, s6, 2, v3
	v_mov_b32_e32 v2, 0
	s_waitcnt lgkmcnt(0)
	v_cmp_gt_u64_e32 vcc, s[8:9], v[1:2]
	s_and_saveexec_b64 s[0:1], vcc
	s_cbranch_execz .LBB0_26
; %bb.1:
	s_load_dwordx4 s[0:3], s[4:5], 0x18
	s_load_dwordx4 s[12:15], s[4:5], 0x0
	v_mul_lo_u16_e32 v2, 27, v3
	v_sub_u16_e32 v47, v0, v2
	v_lshlrev_b32_e32 v50, 2, v47
	s_waitcnt lgkmcnt(0)
	s_load_dwordx4 s[16:19], s[0:1], 0x0
	global_load_dword v48, v50, s[12:13]
	s_mov_b32 s6, 0xb8b4
	s_movk_i32 s7, 0x3a79
	s_load_dwordx2 s[4:5], s[4:5], 0x38
	s_waitcnt lgkmcnt(0)
	v_mad_u64_u32 v[4:5], s[0:1], s18, v1, 0
	v_mad_u64_u32 v[6:7], s[0:1], s16, v47, 0
	v_mov_b32_e32 v0, v5
	v_mov_b32_e32 v2, v7
	v_mad_u64_u32 v[7:8], s[0:1], s19, v1, v[0:1]
	v_mad_u64_u32 v[8:9], s[0:1], s17, v47, v[2:3]
	v_mov_b32_e32 v5, v7
	v_lshlrev_b64 v[4:5], 2, v[4:5]
	v_mov_b32_e32 v0, s11
	v_mov_b32_e32 v7, v8
	v_add_co_u32_e32 v2, vcc, s10, v4
	v_addc_co_u32_e32 v0, vcc, v0, v5, vcc
	v_lshlrev_b64 v[4:5], 2, v[6:7]
	s_mul_i32 s0, s17, 0x6c
	v_add_co_u32_e32 v4, vcc, v2, v4
	v_addc_co_u32_e32 v5, vcc, v0, v5, vcc
	global_load_dword v2, v[4:5], off
	s_mul_hi_u32 s1, s16, 0x6c
	s_add_i32 s0, s1, s0
	s_mul_i32 s1, s16, 0x6c
	v_mov_b32_e32 v0, s0
	v_add_co_u32_e32 v4, vcc, s1, v4
	v_addc_co_u32_e32 v5, vcc, v5, v0, vcc
	global_load_dword v6, v[4:5], off
	global_load_dword v0, v50, s[12:13] offset:108
	v_mov_b32_e32 v7, s0
	v_add_co_u32_e32 v4, vcc, s1, v4
	v_addc_co_u32_e32 v5, vcc, v5, v7, vcc
	global_load_dword v7, v[4:5], off
	global_load_dword v46, v50, s[12:13] offset:216
	;; [unrolled: 5-line block ×9, first 2 shown]
	v_and_b32_e32 v3, 3, v3
	v_mul_u32_u24_e32 v3, 0x10e, v3
	v_lshlrev_b32_e32 v49, 2, v3
	v_add_u32_e32 v42, v49, v50
	s_load_dwordx4 s[8:11], s[2:3], 0x0
	s_movk_i32 s0, 0x3b9c
	s_mov_b32 s3, 0xbb9c
	s_movk_i32 s1, 0x38b4
	s_movk_i32 s2, 0x34f2
	s_waitcnt vmcnt(18)
	v_lshrrev_b32_e32 v3, 16, v2
	v_mul_f16_sdwa v4, v48, v2 dst_sel:DWORD dst_unused:UNUSED_PAD src0_sel:WORD_1 src1_sel:DWORD
	v_mul_f16_sdwa v5, v48, v3 dst_sel:DWORD dst_unused:UNUSED_PAD src0_sel:WORD_1 src1_sel:DWORD
	v_fma_f16 v2, v48, v2, v5
	v_fma_f16 v3, v48, v3, -v4
	v_pack_b32_f16 v2, v2, v3
	s_waitcnt vmcnt(17)
	v_lshrrev_b32_e32 v3, 16, v6
	s_waitcnt vmcnt(16)
	v_mul_f16_sdwa v4, v0, v3 dst_sel:DWORD dst_unused:UNUSED_PAD src0_sel:WORD_1 src1_sel:DWORD
	v_mul_f16_sdwa v5, v0, v6 dst_sel:DWORD dst_unused:UNUSED_PAD src0_sel:WORD_1 src1_sel:DWORD
	v_fma_f16 v4, v0, v6, v4
	v_fma_f16 v3, v0, v3, -v5
	v_pack_b32_f16 v3, v4, v3
	ds_write2_b32 v42, v2, v3 offset1:27
	s_waitcnt vmcnt(15)
	v_lshrrev_b32_e32 v2, 16, v7
	s_waitcnt vmcnt(14)
	v_mul_f16_sdwa v3, v46, v2 dst_sel:DWORD dst_unused:UNUSED_PAD src0_sel:WORD_1 src1_sel:DWORD
	v_mul_f16_sdwa v4, v46, v7 dst_sel:DWORD dst_unused:UNUSED_PAD src0_sel:WORD_1 src1_sel:DWORD
	v_fma_f16 v3, v46, v7, v3
	v_fma_f16 v2, v46, v2, -v4
	v_pack_b32_f16 v2, v3, v2
	s_waitcnt vmcnt(13)
	v_lshrrev_b32_e32 v3, 16, v8
	s_waitcnt vmcnt(12)
	v_mul_f16_sdwa v4, v45, v3 dst_sel:DWORD dst_unused:UNUSED_PAD src0_sel:WORD_1 src1_sel:DWORD
	v_mul_f16_sdwa v5, v45, v8 dst_sel:DWORD dst_unused:UNUSED_PAD src0_sel:WORD_1 src1_sel:DWORD
	v_fma_f16 v4, v45, v8, v4
	v_fma_f16 v3, v45, v3, -v5
	v_pack_b32_f16 v3, v4, v3
	ds_write2_b32 v42, v2, v3 offset0:54 offset1:81
	s_waitcnt vmcnt(11)
	v_lshrrev_b32_e32 v2, 16, v9
	s_waitcnt vmcnt(10)
	v_mul_f16_sdwa v3, v44, v2 dst_sel:DWORD dst_unused:UNUSED_PAD src0_sel:WORD_1 src1_sel:DWORD
	v_mul_f16_sdwa v4, v44, v9 dst_sel:DWORD dst_unused:UNUSED_PAD src0_sel:WORD_1 src1_sel:DWORD
	v_fma_f16 v3, v44, v9, v3
	v_fma_f16 v2, v44, v2, -v4
	v_pack_b32_f16 v2, v3, v2
	s_waitcnt vmcnt(9)
	v_lshrrev_b32_e32 v3, 16, v10
	s_waitcnt vmcnt(8)
	v_mul_f16_sdwa v4, v43, v3 dst_sel:DWORD dst_unused:UNUSED_PAD src0_sel:WORD_1 src1_sel:DWORD
	v_mul_f16_sdwa v5, v43, v10 dst_sel:DWORD dst_unused:UNUSED_PAD src0_sel:WORD_1 src1_sel:DWORD
	v_fma_f16 v4, v43, v10, v4
	v_fma_f16 v3, v43, v3, -v5
	v_pack_b32_f16 v3, v4, v3
	ds_write2_b32 v42, v2, v3 offset0:108 offset1:135
	;; [unrolled: 17-line block ×4, first 2 shown]
	s_waitcnt lgkmcnt(0)
	s_barrier
	ds_read2_b32 v[2:3], v42 offset0:108 offset1:135
	ds_read2_b32 v[4:5], v42 offset0:162 offset1:189
	ds_read2_b32 v[6:7], v42 offset1:27
	ds_read2_b32 v[8:9], v42 offset0:54 offset1:81
	s_waitcnt lgkmcnt(2)
	v_add_f16_e32 v12, v2, v4
	v_sub_f16_sdwa v13, v2, v4 dst_sel:DWORD dst_unused:UNUSED_PAD src0_sel:WORD_1 src1_sel:WORD_1
	s_waitcnt lgkmcnt(0)
	v_pk_add_f16 v10, v6, v8
	v_pk_add_f16 v14, v10, v2
	v_pk_add_f16 v10, v7, v9
	v_pk_add_f16 v15, v10, v3
	ds_read2_b32 v[10:11], v42 offset0:216 offset1:243
	v_pk_add_f16 v15, v15, v5
	v_sub_f16_e32 v16, v8, v2
	v_sub_f16_e32 v17, v2, v8
	v_add_f16_sdwa v18, v2, v4 dst_sel:DWORD dst_unused:UNUSED_PAD src0_sel:WORD_1 src1_sel:WORD_1
	s_waitcnt lgkmcnt(0)
	v_add_f16_e32 v29, v8, v10
	v_sub_f16_e32 v19, v2, v4
	v_sub_f16_sdwa v20, v8, v2 dst_sel:DWORD dst_unused:UNUSED_PAD src0_sel:WORD_1 src1_sel:WORD_1
	v_sub_f16_sdwa v2, v2, v8 dst_sel:DWORD dst_unused:UNUSED_PAD src0_sel:WORD_1 src1_sel:WORD_1
	v_add_f16_e32 v21, v3, v5
	v_sub_f16_sdwa v22, v3, v5 dst_sel:DWORD dst_unused:UNUSED_PAD src0_sel:WORD_1 src1_sel:WORD_1
	v_sub_f16_e32 v23, v9, v3
	v_sub_f16_e32 v24, v3, v9
	v_add_f16_sdwa v25, v3, v5 dst_sel:DWORD dst_unused:UNUSED_PAD src0_sel:WORD_1 src1_sel:WORD_1
	v_sub_f16_e32 v26, v3, v5
	v_sub_f16_sdwa v27, v9, v3 dst_sel:DWORD dst_unused:UNUSED_PAD src0_sel:WORD_1 src1_sel:WORD_1
	v_sub_f16_sdwa v3, v3, v9 dst_sel:DWORD dst_unused:UNUSED_PAD src0_sel:WORD_1 src1_sel:WORD_1
	;; [unrolled: 1-line block ×3, first 2 shown]
	v_add_f16_e32 v32, v9, v11
	v_sub_f16_e32 v33, v9, v11
	v_add_f16_sdwa v9, v9, v11 dst_sel:DWORD dst_unused:UNUSED_PAD src0_sel:WORD_1 src1_sel:WORD_1
	v_pk_add_f16 v14, v14, v4
	v_sub_f16_e32 v34, v10, v4
	v_sub_f16_e32 v35, v4, v10
	v_sub_f16_sdwa v36, v10, v4 dst_sel:DWORD dst_unused:UNUSED_PAD src0_sel:WORD_1 src1_sel:WORD_1
	v_sub_f16_sdwa v4, v4, v10 dst_sel:DWORD dst_unused:UNUSED_PAD src0_sel:WORD_1 src1_sel:WORD_1
	v_sub_f16_e32 v37, v11, v5
	v_sub_f16_e32 v51, v5, v11
	v_sub_f16_sdwa v52, v11, v5 dst_sel:DWORD dst_unused:UNUSED_PAD src0_sel:WORD_1 src1_sel:WORD_1
	v_sub_f16_sdwa v5, v5, v11 dst_sel:DWORD dst_unused:UNUSED_PAD src0_sel:WORD_1 src1_sel:WORD_1
	v_pk_add_f16 v11, v15, v11
	v_fma_f16 v15, v29, -0.5, v6
	v_sub_f16_sdwa v28, v8, v10 dst_sel:DWORD dst_unused:UNUSED_PAD src0_sel:WORD_1 src1_sel:WORD_1
	v_sub_f16_e32 v30, v8, v10
	v_add_f16_sdwa v8, v8, v10 dst_sel:DWORD dst_unused:UNUSED_PAD src0_sel:WORD_1 src1_sel:WORD_1
	v_pk_add_f16 v14, v14, v10
	v_add_f16_e32 v10, v17, v35
	v_fma_f16 v17, v13, s3, v15
	v_fma_f16 v15, v13, s0, v15
	v_add_f16_e32 v2, v2, v4
	v_lshrrev_b32_e32 v4, 16, v6
	v_fma_f16 v17, v28, s1, v17
	v_fma_f16 v15, v28, s6, v15
	v_fma_f16 v8, v8, -0.5, v4
	v_fma_f16 v17, v10, s2, v17
	v_fma_f16 v10, v10, s2, v15
	;; [unrolled: 1-line block ×8, first 2 shown]
	v_add_f16_e32 v2, v24, v51
	v_fma_f16 v24, v32, -0.5, v7
	v_fma_f16 v6, v12, -0.5, v6
	;; [unrolled: 1-line block ×3, first 2 shown]
	v_lshrrev_b32_e32 v7, 16, v7
	v_add_f16_e32 v3, v3, v5
	v_fma_f16 v5, v9, -0.5, v7
	v_fma_f16 v9, v26, s0, v5
	v_fma_f16 v29, v22, s3, v24
	;; [unrolled: 1-line block ×11, first 2 shown]
	v_mul_f16_e32 v5, 0x3b9c, v9
	v_fma_f16 v2, v2, s2, v24
	v_fma_f16 v21, v29, s2, v5
	v_mul_f16_e32 v5, 0xbb9c, v29
	v_fma_f16 v9, v9, s2, v5
	v_mul_f16_e32 v5, 0x34f2, v2
	v_fma_f16 v24, v3, s0, -v5
	v_mul_f16_e32 v3, 0x34f2, v3
	v_fma_f16 v29, v2, s3, -v3
	v_add_f16_e32 v2, v10, v24
	v_add_f16_e32 v3, v8, v29
	v_pack_b32_f16 v3, v2, v3
	v_add_f16_e32 v2, v17, v21
	v_add_f16_e32 v5, v15, v9
	v_fma_f16 v18, v18, -0.5, v4
	v_fma_f16 v7, v25, -0.5, v7
	v_fma_f16 v4, v31, s0, v12
	v_pack_b32_f16 v2, v2, v5
	v_add_f16_e32 v23, v23, v37
	v_fma_f16 v4, v22, s1, v4
	v_fma_f16 v5, v33, s3, v7
	v_add_f16_e32 v25, v27, v52
	v_fma_f16 v4, v23, s2, v4
	v_fma_f16 v5, v26, s6, v5
	v_fma_f16 v5, v25, s2, v5
	v_mul_f16_e32 v27, 0x3a79, v4
	v_mul_f16_e32 v4, 0xb8b4, v4
	v_fma_f16 v32, v5, s7, v4
	v_mul_lo_u16_e32 v4, 10, v47
	v_lshl_add_u32 v51, v4, 2, v49
	v_fma_f16 v4, v28, s0, v6
	v_add_f16_e32 v16, v16, v34
	v_fma_f16 v4, v13, s1, v4
	v_fma_f16 v34, v16, s2, v4
	v_fma_f16 v4, v30, s3, v18
	v_add_f16_e32 v20, v20, v36
	v_fma_f16 v4, v19, s6, v4
	v_fma_f16 v27, v5, s1, v27
	;; [unrolled: 1-line block ×3, first 2 shown]
	v_add_f16_e32 v4, v34, v27
	v_add_f16_e32 v5, v35, v32
	v_pack_b32_f16 v5, v4, v5
	v_pk_add_f16 v4, v14, v11
	s_barrier
	ds_write2_b64 v51, v[4:5], v[2:3] offset1:1
	v_sub_f16_e32 v2, v34, v27
	v_sub_f16_e32 v4, v35, v32
	v_pack_b32_f16 v2, v2, v4
	v_fma_f16 v4, v28, s3, v6
	v_fma_f16 v6, v31, s3, v12
	;; [unrolled: 1-line block ×4, first 2 shown]
	v_sub_f16_e32 v3, v17, v21
	v_sub_f16_e32 v5, v15, v9
	v_fma_f16 v6, v23, s2, v6
	v_fma_f16 v7, v26, s1, v7
	v_pack_b32_f16 v3, v3, v5
	v_fma_f16 v5, v30, s0, v18
	v_fma_f16 v7, v25, s2, v7
	v_mul_f16_e32 v9, 0x3a79, v6
	v_fma_f16 v4, v13, s6, v4
	v_fma_f16 v5, v19, s1, v5
	v_fma_f16 v9, v7, s1, -v9
	v_mul_f16_e32 v7, 0x3a79, v7
	v_fma_f16 v4, v16, s2, v4
	v_fma_f16 v5, v20, s2, v5
	v_fma_f16 v6, v6, s6, -v7
	v_add_f16_e32 v12, v5, v6
	v_sub_f16_e32 v22, v5, v6
	v_add_f16_e32 v6, v4, v9
	v_sub_f16_e32 v7, v10, v24
	v_sub_f16_e32 v8, v8, v29
	;; [unrolled: 1-line block ×3, first 2 shown]
	v_pk_add_f16 v5, v14, v11 neg_lo:[0,1] neg_hi:[0,1]
	v_pack_b32_f16 v4, v6, v12
	ds_write2_b64 v51, v[4:5], v[2:3] offset0:2 offset1:3
	v_pack_b32_f16 v3, v10, v22
	v_pack_b32_f16 v2, v7, v8
	ds_write_b64 v51, v[2:3] offset:32
	s_waitcnt lgkmcnt(0)
	s_barrier
	ds_read2_b32 v[14:15], v42 offset1:27
	ds_read2_b32 v[12:13], v42 offset0:54 offset1:90
	ds_read_b32 v23, v42 offset:936
	ds_read2_b32 v[16:17], v42 offset0:180 offset1:207
	ds_read2_b32 v[20:21], v42 offset0:117 offset1:144
	v_cmp_gt_u16_e64 s[0:1], 9, v47
                                        ; implicit-def: $vgpr27
                                        ; implicit-def: $vgpr26
                                        ; implicit-def: $vgpr28
	s_and_saveexec_b64 s[2:3], s[0:1]
	s_cbranch_execz .LBB0_3
; %bb.2:
	ds_read2_b32 v[10:11], v42 offset0:81 offset1:171
	ds_read_b32 v26, v42 offset:1044
	s_waitcnt lgkmcnt(1)
	v_lshrrev_b32_e32 v22, 16, v10
	v_lshrrev_b32_e32 v27, 16, v11
	s_waitcnt lgkmcnt(0)
	v_lshrrev_b32_e32 v28, 16, v26
.LBB0_3:
	s_or_b64 exec, exec, s[2:3]
	v_add_co_u32_e64 v18, s[2:3], 27, v47
	v_addc_co_u32_e64 v19, s[2:3], 0, 0, s[2:3]
	s_movk_i32 s6, 0xcd
	v_add_co_u32_e64 v24, s[2:3], 54, v47
	v_mul_lo_u16_sdwa v2, v18, s6 dst_sel:DWORD dst_unused:UNUSED_PAD src0_sel:BYTE_0 src1_sel:DWORD
	v_mul_lo_u16_sdwa v4, v24, s6 dst_sel:DWORD dst_unused:UNUSED_PAD src0_sel:BYTE_0 src1_sel:DWORD
	v_lshrrev_b16_e32 v29, 11, v2
	v_lshrrev_b16_e32 v31, 11, v4
	v_mul_lo_u16_e32 v2, 10, v29
	v_mul_lo_u16_e32 v4, 10, v31
	v_sub_u16_e32 v30, v18, v2
	v_mov_b32_e32 v2, 3
	v_sub_u16_e32 v32, v24, v4
	v_mul_lo_u16_sdwa v4, v47, s6 dst_sel:DWORD dst_unused:UNUSED_PAD src0_sel:BYTE_0 src1_sel:DWORD
	v_lshlrev_b32_sdwa v3, v2, v30 dst_sel:DWORD dst_unused:UNUSED_PAD src0_sel:DWORD src1_sel:BYTE_0
	v_lshrrev_b16_e32 v33, 11, v4
	global_load_dwordx2 v[6:7], v3, s[14:15]
	v_mul_lo_u16_e32 v3, 10, v33
	v_sub_u16_e32 v53, v47, v3
	v_lshlrev_b16_e32 v4, 1, v53
	v_add_co_u32_e32 v59, vcc, 0x51, v47
	v_and_b32_e32 v4, 0xfe, v4
	v_lshlrev_b32_e32 v34, 2, v4
	v_mul_lo_u16_sdwa v4, v59, s6 dst_sel:DWORD dst_unused:UNUSED_PAD src0_sel:BYTE_0 src1_sel:DWORD
	v_lshrrev_b16_e32 v4, 11, v4
	v_mul_lo_u16_e32 v4, 10, v4
	v_sub_u16_e32 v52, v59, v4
	v_lshlrev_b16_e32 v4, 1, v52
	v_and_b32_e32 v4, 0xfe, v4
	v_lshlrev_b32_sdwa v2, v2, v32 dst_sel:DWORD dst_unused:UNUSED_PAD src0_sel:DWORD src1_sel:BYTE_0
	v_lshlrev_b32_e32 v35, 2, v4
	global_load_dwordx2 v[2:3], v2, s[14:15]
	s_nop 0
	global_load_dwordx2 v[4:5], v35, s[14:15]
	global_load_dwordx2 v[8:9], v34, s[14:15]
	s_waitcnt lgkmcnt(0)
	v_lshrrev_b32_e32 v54, 16, v20
	v_lshrrev_b32_e32 v55, 16, v17
	;; [unrolled: 1-line block ×5, first 2 shown]
	s_movk_i32 s6, 0x3aee
	s_mov_b32 s7, 0xbaee
	v_lshrrev_b32_e32 v57, 16, v21
	v_lshrrev_b32_e32 v58, 16, v23
	;; [unrolled: 1-line block ×4, first 2 shown]
	s_waitcnt vmcnt(0)
	s_barrier
	v_addc_co_u32_e64 v25, s[2:3], 0, 0, s[2:3]
	v_addc_co_u32_e64 v60, s[2:3], 0, 0, vcc
	v_mul_f16_sdwa v61, v54, v6 dst_sel:DWORD dst_unused:UNUSED_PAD src0_sel:DWORD src1_sel:WORD_1
	v_mul_f16_sdwa v63, v55, v7 dst_sel:DWORD dst_unused:UNUSED_PAD src0_sel:DWORD src1_sel:WORD_1
	;; [unrolled: 1-line block ×4, first 2 shown]
	v_fma_f16 v20, v20, v6, -v61
	v_fma_f16 v17, v17, v7, -v63
	v_fma_f16 v54, v54, v6, v62
	v_fma_f16 v55, v55, v7, v64
	v_mul_f16_sdwa v65, v57, v2 dst_sel:DWORD dst_unused:UNUSED_PAD src0_sel:DWORD src1_sel:WORD_1
	v_mul_f16_sdwa v61, v35, v8 dst_sel:DWORD dst_unused:UNUSED_PAD src0_sel:DWORD src1_sel:WORD_1
	;; [unrolled: 1-line block ×5, first 2 shown]
	v_fma_f16 v16, v16, v9, -v63
	v_fma_f16 v13, v13, v8, -v61
	v_fma_f16 v35, v35, v8, v62
	v_fma_f16 v36, v36, v9, v64
	v_add_f16_e32 v62, v13, v16
	v_add_f16_e32 v61, v14, v13
	v_sub_f16_e32 v63, v35, v36
	v_fma_f16 v14, v62, -0.5, v14
	v_fma_f16 v62, v63, s6, v14
	v_fma_f16 v14, v63, s7, v14
	v_add_f16_e32 v63, v34, v35
	v_add_f16_e32 v35, v35, v36
	v_fma_f16 v34, v35, -0.5, v34
	v_sub_f16_e32 v13, v13, v16
	v_mul_f16_sdwa v66, v21, v2 dst_sel:DWORD dst_unused:UNUSED_PAD src0_sel:DWORD src1_sel:WORD_1
	v_mul_f16_sdwa v67, v58, v3 dst_sel:DWORD dst_unused:UNUSED_PAD src0_sel:DWORD src1_sel:WORD_1
	;; [unrolled: 1-line block ×3, first 2 shown]
	v_fma_f16 v21, v21, v2, -v65
	v_add_f16_e32 v61, v61, v16
	v_fma_f16 v16, v13, s7, v34
	v_fma_f16 v13, v13, s6, v34
	v_add_f16_e32 v34, v15, v20
	v_fma_f16 v23, v23, v3, -v67
	v_fma_f16 v58, v58, v3, v68
	v_mul_f16_sdwa v68, v26, v5 dst_sel:DWORD dst_unused:UNUSED_PAD src0_sel:DWORD src1_sel:WORD_1
	v_add_f16_e32 v64, v34, v17
	v_add_f16_e32 v34, v20, v17
	v_sub_f16_e32 v17, v20, v17
	v_add_f16_e32 v20, v12, v21
	v_fma_f16 v57, v57, v2, v66
	v_mul_f16_sdwa v67, v28, v5 dst_sel:DWORD dst_unused:UNUSED_PAD src0_sel:DWORD src1_sel:WORD_1
	v_fma_f16 v28, v28, v5, v68
	v_add_f16_e32 v68, v20, v23
	v_add_f16_e32 v20, v21, v23
	v_fma_f16 v12, v20, -0.5, v12
	v_sub_f16_e32 v20, v57, v58
	v_mul_f16_sdwa v65, v27, v4 dst_sel:DWORD dst_unused:UNUSED_PAD src0_sel:DWORD src1_sel:WORD_1
	v_fma_f16 v15, v34, -0.5, v15
	v_sub_f16_e32 v34, v54, v55
	v_fma_f16 v69, v20, s6, v12
	v_fma_f16 v12, v20, s7, v12
	v_add_f16_e32 v20, v56, v57
	v_mul_f16_sdwa v66, v11, v4 dst_sel:DWORD dst_unused:UNUSED_PAD src0_sel:DWORD src1_sel:WORD_1
	v_fma_f16 v11, v11, v4, -v65
	v_fma_f16 v65, v34, s6, v15
	v_fma_f16 v15, v34, s7, v15
	v_add_f16_e32 v34, v37, v54
	v_add_f16_e32 v70, v20, v58
	;; [unrolled: 1-line block ×3, first 2 shown]
	v_fma_f16 v27, v27, v4, v66
	v_fma_f16 v26, v26, v5, -v67
	v_add_f16_e32 v66, v34, v55
	v_add_f16_e32 v34, v54, v55
	v_fma_f16 v20, v20, -0.5, v56
	v_sub_f16_e32 v21, v21, v23
	v_fma_f16 v34, v34, -0.5, v37
	v_fma_f16 v23, v21, s7, v20
	v_fma_f16 v57, v21, s6, v20
	v_add_f16_e32 v21, v11, v26
	v_fma_f16 v67, v17, s7, v34
	v_fma_f16 v17, v17, s6, v34
	v_add_f16_e32 v20, v10, v11
	v_fma_f16 v10, v21, -0.5, v10
	v_sub_f16_e32 v34, v27, v28
	v_fma_f16 v21, v34, s6, v10
	v_fma_f16 v35, v34, s7, v10
	v_add_f16_e32 v10, v22, v27
	v_add_f16_e32 v34, v10, v28
	;; [unrolled: 1-line block ×3, first 2 shown]
	v_fma_f16 v10, v10, -0.5, v22
	v_sub_f16_e32 v11, v11, v26
	v_add_f16_e32 v63, v63, v36
	v_fma_f16 v36, v11, s7, v10
	v_fma_f16 v37, v11, s6, v10
	v_mad_legacy_u16 v10, v33, 30, v53
	v_and_b32_e32 v10, 0xff, v10
	v_lshl_add_u32 v54, v10, 2, v49
	v_pack_b32_f16 v10, v61, v63
	v_pack_b32_f16 v11, v62, v16
	ds_write2_b32 v54, v10, v11 offset1:10
	v_pack_b32_f16 v10, v14, v13
	ds_write_b32 v54, v10 offset:80
	v_mul_lo_u16_e32 v10, 30, v29
	v_and_b32_e32 v10, 0xfe, v10
	v_add_u32_sdwa v10, v10, v30 dst_sel:DWORD dst_unused:UNUSED_PAD src0_sel:DWORD src1_sel:BYTE_0
	v_lshl_add_u32 v55, v10, 2, v49
	v_pack_b32_f16 v10, v64, v66
	v_pack_b32_f16 v11, v65, v67
	ds_write2_b32 v55, v10, v11 offset1:10
	v_pack_b32_f16 v10, v15, v17
	ds_write_b32 v55, v10 offset:80
	v_mul_u32_u24_e32 v10, 30, v31
	v_add_u32_sdwa v10, v10, v32 dst_sel:DWORD dst_unused:UNUSED_PAD src0_sel:DWORD src1_sel:BYTE_0
	v_lshl_add_u32 v56, v10, 2, v49
	v_pack_b32_f16 v10, v68, v70
	v_pack_b32_f16 v11, v69, v23
	v_add_f16_e32 v20, v20, v26
	ds_write2_b32 v56, v10, v11 offset1:10
	v_pack_b32_f16 v10, v12, v57
	ds_write_b32 v56, v10 offset:80
	s_and_saveexec_b64 s[2:3], s[0:1]
	s_cbranch_execz .LBB0_5
; %bb.4:
	v_and_b32_e32 v10, 0xff, v52
	s_mov_b32 s6, 0x5040100
	v_lshl_add_u32 v10, v10, 2, v49
	v_perm_b32 v11, v34, v20, s6
	v_perm_b32 v12, v36, v21, s6
	ds_write2_b32 v10, v11, v12 offset0:240 offset1:250
	v_perm_b32 v11, v37, v35, s6
	ds_write_b32 v10, v11 offset:1040
.LBB0_5:
	s_or_b64 exec, exec, s[2:3]
	s_waitcnt lgkmcnt(0)
	s_barrier
	ds_read2_b32 v[28:29], v42 offset1:27
	ds_read2_b32 v[26:27], v42 offset0:54 offset1:90
	ds_read2_b32 v[32:33], v42 offset0:180 offset1:207
	;; [unrolled: 1-line block ×3, first 2 shown]
	ds_read_b32 v57, v42 offset:936
	s_and_saveexec_b64 s[2:3], s[0:1]
	s_cbranch_execz .LBB0_7
; %bb.6:
	ds_read2_b32 v[20:21], v42 offset0:81 offset1:171
	ds_read_b32 v35, v42 offset:1044
	s_waitcnt lgkmcnt(1)
	v_lshrrev_b32_e32 v34, 16, v20
	v_lshrrev_b32_e32 v36, 16, v21
	s_waitcnt lgkmcnt(0)
	v_lshrrev_b32_e32 v37, 16, v35
.LBB0_7:
	s_or_b64 exec, exec, s[2:3]
	v_add_co_u32_e32 v12, vcc, -3, v47
	v_addc_co_u32_e64 v13, s[2:3], 0, -1, vcc
	s_movk_i32 s2, 0x89
	v_cmp_gt_u16_e32 vcc, 3, v47
	v_mul_lo_u16_sdwa v16, v59, s2 dst_sel:DWORD dst_unused:UNUSED_PAD src0_sel:BYTE_0 src1_sel:DWORD
	v_cndmask_b32_e32 v67, v13, v19, vcc
	v_cndmask_b32_e32 v66, v12, v18, vcc
	v_lshrrev_b16_e32 v16, 12, v16
	v_lshlrev_b64 v[12:13], 3, v[66:67]
	v_mul_lo_u16_e32 v16, 30, v16
	v_sub_u16_e32 v53, v59, v16
	v_mov_b32_e32 v23, s15
	v_add_co_u32_e32 v12, vcc, s14, v12
	v_lshlrev_b16_e32 v16, 3, v53
	v_addc_co_u32_e32 v13, vcc, v23, v13, vcc
	v_and_b32_e32 v16, 0xf8, v16
	v_add_co_u32_e32 v16, vcc, s14, v16
	v_lshlrev_b32_e32 v22, 3, v47
	v_addc_co_u32_e32 v17, vcc, 0, v23, vcc
	global_load_dwordx2 v[10:11], v22, s[14:15] offset:80
	global_load_dwordx2 v[14:15], v[12:13], off offset:80
	s_waitcnt lgkmcnt(3)
	v_lshrrev_b32_e32 v62, 16, v27
	global_load_dwordx2 v[16:17], v[16:17], off offset:80
	v_mul_lo_u16_sdwa v12, v24, s2 dst_sel:DWORD dst_unused:UNUSED_PAD src0_sel:BYTE_0 src1_sel:DWORD
	v_lshrrev_b16_e32 v58, 12, v12
	v_mul_lo_u16_e32 v12, 30, v58
	v_sub_u16_e32 v67, v24, v12
	v_mov_b32_e32 v12, 3
	v_lshlrev_b32_sdwa v12, v12, v67 dst_sel:DWORD dst_unused:UNUSED_PAD src0_sel:DWORD src1_sel:BYTE_0
	global_load_dwordx2 v[12:13], v12, s[14:15] offset:80
	s_waitcnt lgkmcnt(2)
	v_lshrrev_b32_e32 v63, 16, v32
	s_waitcnt lgkmcnt(1)
	v_lshrrev_b32_e32 v68, 16, v30
	v_lshrrev_b32_e32 v69, 16, v33
	v_lshrrev_b32_e32 v61, 16, v28
	v_lshrrev_b32_e32 v71, 16, v31
	s_movk_i32 s2, 0x3aee
	s_mov_b32 s3, 0xbaee
	s_waitcnt lgkmcnt(0)
	v_lshrrev_b32_e32 v72, 16, v57
	v_lshrrev_b32_e32 v64, 16, v29
	;; [unrolled: 1-line block ×3, first 2 shown]
	v_add_co_u32_e32 v22, vcc, s14, v22
	v_addc_co_u32_e32 v23, vcc, 0, v23, vcc
	s_waitcnt vmcnt(0)
	s_barrier
	v_cmp_lt_u16_e32 vcc, 2, v47
	v_mov_b32_e32 v65, s13
	v_mul_f16_sdwa v73, v62, v10 dst_sel:DWORD dst_unused:UNUSED_PAD src0_sel:DWORD src1_sel:WORD_1
	v_mul_f16_sdwa v75, v63, v11 dst_sel:DWORD dst_unused:UNUSED_PAD src0_sel:DWORD src1_sel:WORD_1
	;; [unrolled: 1-line block ×4, first 2 shown]
	v_fma_f16 v27, v27, v10, -v73
	v_fma_f16 v32, v32, v11, -v75
	v_fma_f16 v62, v62, v10, v74
	v_fma_f16 v63, v63, v11, v76
	v_add_f16_e32 v74, v27, v32
	v_add_f16_e32 v73, v28, v27
	v_sub_f16_e32 v75, v62, v63
	v_fma_f16 v28, v74, -0.5, v28
	v_mul_f16_sdwa v74, v68, v14 dst_sel:DWORD dst_unused:UNUSED_PAD src0_sel:DWORD src1_sel:WORD_1
	v_mul_f16_sdwa v76, v30, v14 dst_sel:DWORD dst_unused:UNUSED_PAD src0_sel:DWORD src1_sel:WORD_1
	;; [unrolled: 1-line block ×4, first 2 shown]
	v_fma_f16 v79, v75, s2, v28
	v_fma_f16 v75, v75, s3, v28
	v_fma_f16 v28, v30, v14, -v74
	v_fma_f16 v30, v68, v14, v76
	v_fma_f16 v33, v33, v15, -v77
	v_fma_f16 v68, v69, v15, v78
	v_mul_f16_sdwa v69, v71, v12 dst_sel:DWORD dst_unused:UNUSED_PAD src0_sel:DWORD src1_sel:WORD_1
	v_mul_f16_sdwa v74, v31, v12 dst_sel:DWORD dst_unused:UNUSED_PAD src0_sel:DWORD src1_sel:WORD_1
	;; [unrolled: 1-line block ×4, first 2 shown]
	v_fma_f16 v31, v31, v12, -v69
	v_fma_f16 v69, v71, v12, v74
	v_fma_f16 v71, v72, v13, v77
	v_mul_f16_sdwa v72, v36, v16 dst_sel:DWORD dst_unused:UNUSED_PAD src0_sel:DWORD src1_sel:WORD_1
	v_mul_f16_sdwa v74, v21, v16 dst_sel:DWORD dst_unused:UNUSED_PAD src0_sel:DWORD src1_sel:WORD_1
	v_fma_f16 v21, v21, v16, -v72
	v_add_f16_e32 v72, v61, v62
	v_add_f16_e32 v62, v62, v63
	v_fma_f16 v61, v62, -0.5, v61
	v_sub_f16_e32 v27, v27, v32
	v_add_f16_e32 v73, v73, v32
	v_fma_f16 v32, v27, s3, v61
	v_fma_f16 v27, v27, s2, v61
	v_add_f16_e32 v61, v29, v28
	v_fma_f16 v36, v36, v16, v74
	v_add_f16_e32 v74, v61, v33
	v_add_f16_e32 v61, v28, v33
	v_fma_f16 v57, v57, v13, -v76
	v_mul_f16_sdwa v76, v37, v17 dst_sel:DWORD dst_unused:UNUSED_PAD src0_sel:DWORD src1_sel:WORD_1
	v_mul_f16_sdwa v77, v35, v17 dst_sel:DWORD dst_unused:UNUSED_PAD src0_sel:DWORD src1_sel:WORD_1
	v_fma_f16 v29, v61, -0.5, v29
	v_sub_f16_e32 v61, v30, v68
	v_fma_f16 v35, v35, v17, -v76
	v_fma_f16 v37, v37, v17, v77
	v_fma_f16 v76, v61, s2, v29
	;; [unrolled: 1-line block ×3, first 2 shown]
	v_add_f16_e32 v29, v64, v30
	v_add_f16_e32 v78, v29, v68
	v_add_f16_e32 v29, v30, v68
	v_fma_f16 v29, v29, -0.5, v64
	v_sub_f16_e32 v28, v28, v33
	v_fma_f16 v30, v28, s3, v29
	v_fma_f16 v33, v28, s2, v29
	v_add_f16_e32 v28, v26, v31
	v_add_f16_e32 v68, v28, v57
	v_add_f16_e32 v28, v31, v57
	v_fma_f16 v26, v28, -0.5, v26
	v_sub_f16_e32 v28, v69, v71
	v_fma_f16 v80, v28, s2, v26
	v_fma_f16 v26, v28, s3, v26
	;; [unrolled: 7-line block ×3, first 2 shown]
	v_add_f16_e32 v29, v21, v35
	v_add_f16_e32 v28, v20, v21
	v_fma_f16 v20, v29, -0.5, v20
	v_sub_f16_e32 v57, v36, v37
	v_fma_f16 v29, v57, s2, v20
	v_fma_f16 v62, v57, s3, v20
	v_add_f16_e32 v20, v34, v36
	v_add_f16_e32 v61, v20, v37
	;; [unrolled: 1-line block ×4, first 2 shown]
	v_fma_f16 v20, v20, -0.5, v34
	v_sub_f16_e32 v21, v21, v35
	v_fma_f16 v64, v21, s3, v20
	v_fma_f16 v63, v21, s2, v20
	v_pack_b32_f16 v20, v73, v72
	v_pack_b32_f16 v21, v79, v32
	ds_write2_b32 v42, v20, v21 offset1:30
	v_pack_b32_f16 v20, v75, v27
	ds_write_b32 v42, v20 offset:240
	v_mov_b32_e32 v20, 0x5a
	v_cndmask_b32_e32 v20, 0, v20, vcc
	v_add_u32_e32 v20, v66, v20
	v_lshl_add_u32 v57, v20, 2, v49
	v_pack_b32_f16 v20, v74, v78
	v_pack_b32_f16 v21, v76, v30
	ds_write2_b32 v57, v20, v21 offset1:30
	v_pack_b32_f16 v20, v77, v33
	ds_write_b32 v57, v20 offset:240
	v_mul_u32_u24_e32 v20, 0x5a, v58
	v_add_u32_sdwa v20, v20, v67 dst_sel:DWORD dst_unused:UNUSED_PAD src0_sel:DWORD src1_sel:BYTE_0
	v_lshl_add_u32 v58, v20, 2, v49
	v_pack_b32_f16 v20, v68, v81
	v_pack_b32_f16 v21, v80, v31
	v_add_f16_e32 v28, v28, v35
	ds_write2_b32 v58, v20, v21 offset1:30
	v_pack_b32_f16 v20, v26, v69
	ds_write_b32 v58, v20 offset:240
	s_and_saveexec_b64 s[2:3], s[0:1]
	s_cbranch_execz .LBB0_9
; %bb.8:
	v_and_b32_e32 v20, 0xff, v53
	s_mov_b32 s6, 0x5040100
	v_lshl_add_u32 v20, v20, 2, v49
	v_perm_b32 v21, v61, v28, s6
	v_perm_b32 v26, v64, v29, s6
	ds_write2_b32 v20, v21, v26 offset0:180 offset1:210
	v_perm_b32 v21, v63, v62, s6
	ds_write_b32 v20, v21 offset:960
.LBB0_9:
	s_or_b64 exec, exec, s[2:3]
	s_waitcnt lgkmcnt(0)
	s_barrier
	ds_read2_b32 v[32:33], v42 offset1:27
	ds_read2_b32 v[26:27], v42 offset0:54 offset1:90
	ds_read2_b32 v[36:37], v42 offset0:180 offset1:207
	;; [unrolled: 1-line block ×3, first 2 shown]
	ds_read_b32 v66, v42 offset:936
	v_add_co_u32_e32 v30, vcc, s12, v50
	v_addc_co_u32_e32 v31, vcc, 0, v65, vcc
	s_and_saveexec_b64 s[2:3], s[0:1]
	s_cbranch_execz .LBB0_11
; %bb.10:
	ds_read2_b32 v[28:29], v42 offset0:81 offset1:171
	ds_read_b32 v62, v42 offset:1044
	s_waitcnt lgkmcnt(1)
	v_lshrrev_b32_e32 v61, 16, v28
	v_lshrrev_b32_e32 v64, 16, v29
	s_waitcnt lgkmcnt(0)
	v_lshrrev_b32_e32 v63, 16, v62
.LBB0_11:
	s_or_b64 exec, exec, s[2:3]
	global_load_dwordx2 v[20:21], v[22:23], off offset:320
	s_waitcnt lgkmcnt(3)
	v_lshrrev_b32_e32 v67, 16, v27
	s_waitcnt lgkmcnt(2)
	v_lshrrev_b32_e32 v68, 16, v36
	v_lshlrev_b64 v[18:19], 3, v[18:19]
	s_waitcnt lgkmcnt(1)
	v_lshrrev_b32_e32 v70, 16, v34
	v_add_co_u32_e32 v18, vcc, s14, v18
	v_lshrrev_b32_e32 v71, 16, v37
	v_lshrrev_b32_e32 v73, 16, v35
	s_waitcnt lgkmcnt(0)
	v_lshrrev_b32_e32 v74, 16, v66
	v_lshrrev_b32_e32 v65, 16, v32
	;; [unrolled: 1-line block ×4, first 2 shown]
	s_waitcnt vmcnt(0)
	v_mul_f16_sdwa v22, v67, v20 dst_sel:DWORD dst_unused:UNUSED_PAD src0_sel:DWORD src1_sel:WORD_1
	v_fma_f16 v75, v27, v20, -v22
	v_mul_f16_sdwa v22, v27, v20 dst_sel:DWORD dst_unused:UNUSED_PAD src0_sel:DWORD src1_sel:WORD_1
	v_fma_f16 v27, v67, v20, v22
	v_mul_f16_sdwa v22, v68, v21 dst_sel:DWORD dst_unused:UNUSED_PAD src0_sel:DWORD src1_sel:WORD_1
	v_fma_f16 v67, v36, v21, -v22
	v_mul_f16_sdwa v22, v36, v21 dst_sel:DWORD dst_unused:UNUSED_PAD src0_sel:DWORD src1_sel:WORD_1
	v_fma_f16 v36, v68, v21, v22
	v_mov_b32_e32 v68, s15
	v_addc_co_u32_e32 v19, vcc, v68, v19, vcc
	global_load_dwordx2 v[22:23], v[18:19], off offset:320
	s_waitcnt vmcnt(0)
	v_mul_f16_sdwa v18, v70, v22 dst_sel:DWORD dst_unused:UNUSED_PAD src0_sel:DWORD src1_sel:WORD_1
	v_fma_f16 v76, v34, v22, -v18
	v_mul_f16_sdwa v18, v34, v22 dst_sel:DWORD dst_unused:UNUSED_PAD src0_sel:DWORD src1_sel:WORD_1
	v_fma_f16 v70, v70, v22, v18
	v_mul_f16_sdwa v18, v71, v23 dst_sel:DWORD dst_unused:UNUSED_PAD src0_sel:DWORD src1_sel:WORD_1
	v_fma_f16 v77, v37, v23, -v18
	v_mul_f16_sdwa v18, v37, v23 dst_sel:DWORD dst_unused:UNUSED_PAD src0_sel:DWORD src1_sel:WORD_1
	v_fma_f16 v37, v71, v23, v18
	v_lshlrev_b64 v[18:19], 3, v[24:25]
	v_add_co_u32_e32 v18, vcc, s14, v18
	v_addc_co_u32_e32 v19, vcc, v68, v19, vcc
	global_load_dwordx2 v[24:25], v[18:19], off offset:320
	s_waitcnt vmcnt(0)
	v_mul_f16_sdwa v18, v73, v24 dst_sel:DWORD dst_unused:UNUSED_PAD src0_sel:DWORD src1_sel:WORD_1
	v_fma_f16 v71, v35, v24, -v18
	v_mul_f16_sdwa v18, v35, v24 dst_sel:DWORD dst_unused:UNUSED_PAD src0_sel:DWORD src1_sel:WORD_1
	v_fma_f16 v73, v73, v24, v18
	v_mul_f16_sdwa v18, v74, v25 dst_sel:DWORD dst_unused:UNUSED_PAD src0_sel:DWORD src1_sel:WORD_1
	v_fma_f16 v78, v66, v25, -v18
	v_mul_f16_sdwa v18, v66, v25 dst_sel:DWORD dst_unused:UNUSED_PAD src0_sel:DWORD src1_sel:WORD_1
	v_fma_f16 v66, v74, v25, v18
	v_add_co_u32_e32 v18, vcc, -9, v47
	v_addc_co_u32_e64 v19, s[2:3], 0, -1, vcc
	v_cndmask_b32_e64 v19, v19, v60, s[0:1]
	v_cndmask_b32_e64 v18, v18, v59, s[0:1]
	v_lshlrev_b64 v[18:19], 3, v[18:19]
	s_movk_i32 s2, 0x3aee
	v_add_co_u32_e32 v18, vcc, s14, v18
	v_addc_co_u32_e32 v19, vcc, v68, v19, vcc
	global_load_dwordx2 v[18:19], v[18:19], off offset:320
	s_mov_b32 s3, 0xbaee
	s_waitcnt vmcnt(0)
	v_mul_f16_sdwa v34, v64, v18 dst_sel:DWORD dst_unused:UNUSED_PAD src0_sel:DWORD src1_sel:WORD_1
	v_fma_f16 v34, v29, v18, -v34
	v_mul_f16_sdwa v29, v29, v18 dst_sel:DWORD dst_unused:UNUSED_PAD src0_sel:DWORD src1_sel:WORD_1
	v_mul_f16_sdwa v59, v62, v19 dst_sel:DWORD dst_unused:UNUSED_PAD src0_sel:DWORD src1_sel:WORD_1
	v_fma_f16 v35, v64, v18, v29
	v_mul_f16_sdwa v29, v63, v19 dst_sel:DWORD dst_unused:UNUSED_PAD src0_sel:DWORD src1_sel:WORD_1
	v_fma_f16 v60, v63, v19, v59
	v_add_f16_e32 v59, v32, v75
	v_fma_f16 v29, v62, v19, -v29
	v_add_f16_e32 v62, v59, v67
	v_add_f16_e32 v59, v75, v67
	v_fma_f16 v32, v59, -0.5, v32
	v_sub_f16_e32 v59, v27, v36
	v_fma_f16 v63, v59, s2, v32
	v_fma_f16 v32, v59, s3, v32
	v_add_f16_e32 v59, v65, v27
	v_add_f16_e32 v27, v27, v36
	v_add_f16_e32 v64, v59, v36
	v_fma_f16 v27, v27, -0.5, v65
	v_sub_f16_e32 v36, v75, v67
	v_fma_f16 v65, v36, s3, v27
	v_fma_f16 v67, v36, s2, v27
	v_add_f16_e32 v27, v33, v76
	;; [unrolled: 7-line block ×6, first 2 shown]
	v_fma_f16 v27, v26, -0.5, v28
	v_sub_f16_e32 v36, v35, v60
	v_fma_f16 v26, v36, s2, v27
	v_fma_f16 v27, v36, s3, v27
	v_add_f16_e32 v36, v35, v60
	v_fma_f16 v36, v36, -0.5, v61
	v_sub_f16_e32 v59, v34, v29
	v_fma_f16 v37, v59, s3, v36
	v_fma_f16 v59, v59, s2, v36
	v_lshl_add_u32 v36, v47, 2, v49
	v_pack_b32_f16 v32, v32, v67
	v_pack_b32_f16 v62, v62, v64
	;; [unrolled: 1-line block ×3, first 2 shown]
	ds_write_b32 v36, v32 offset:720
	v_pack_b32_f16 v32, v68, v75
	ds_write_b32 v36, v63 offset:360
	ds_write2_b32 v42, v62, v32 offset1:27
	v_pack_b32_f16 v32, v74, v69
	ds_write_b32 v36, v32 offset:468
	v_pack_b32_f16 v32, v33, v70
	ds_write_b32 v36, v32 offset:828
	;; [unrolled: 2-line block ×3, first 2 shown]
	v_pack_b32_f16 v32, v77, v66
	v_pack_b32_f16 v33, v79, v71
	ds_write2_b32 v42, v32, v33 offset0:144 offset1:234
	s_and_saveexec_b64 s[2:3], s[0:1]
	s_cbranch_execz .LBB0_13
; %bb.12:
	v_add_f16_e32 v32, v61, v35
	v_add_f16_e32 v28, v28, v34
	;; [unrolled: 1-line block ×4, first 2 shown]
	v_pack_b32_f16 v28, v28, v32
	s_mov_b32 s6, 0x5040100
	ds_write_b32 v42, v28 offset:324
	v_perm_b32 v28, v37, v26, s6
	v_perm_b32 v29, v59, v27, s6
	v_add_u32_e32 v32, 0x200, v36
	ds_write2_b32 v32, v28, v29 offset0:43 offset1:133
.LBB0_13:
	s_or_b64 exec, exec, s[2:3]
	s_waitcnt lgkmcnt(0)
	s_barrier
	global_load_dword v30, v[30:31], off offset:1080
	ds_read2_b32 v[28:29], v42 offset1:27
	s_add_u32 s2, s12, 0x438
	s_addc_u32 s3, s13, 0
	s_movk_i32 s7, 0x3b9c
	s_movk_i32 s12, 0x38b4
	s_waitcnt lgkmcnt(0)
	v_lshrrev_b32_e32 v32, 16, v28
	s_movk_i32 s6, 0x34f2
	s_waitcnt vmcnt(0)
	v_mul_f16_sdwa v31, v32, v30 dst_sel:DWORD dst_unused:UNUSED_PAD src0_sel:DWORD src1_sel:WORD_1
	v_fma_f16 v31, v28, v30, -v31
	v_mul_f16_sdwa v28, v28, v30 dst_sel:DWORD dst_unused:UNUSED_PAD src0_sel:DWORD src1_sel:WORD_1
	v_fma_f16 v28, v32, v30, v28
	v_pack_b32_f16 v28, v31, v28
	global_load_dword v31, v50, s[2:3] offset:108
	v_lshrrev_b32_e32 v30, 16, v29
	s_waitcnt vmcnt(0)
	v_mul_f16_sdwa v32, v30, v31 dst_sel:DWORD dst_unused:UNUSED_PAD src0_sel:DWORD src1_sel:WORD_1
	v_fma_f16 v32, v29, v31, -v32
	v_mul_f16_sdwa v29, v29, v31 dst_sel:DWORD dst_unused:UNUSED_PAD src0_sel:DWORD src1_sel:WORD_1
	v_fma_f16 v29, v30, v31, v29
	global_load_dword v31, v50, s[2:3] offset:216
	v_pack_b32_f16 v29, v32, v29
	ds_write2_b32 v42, v28, v29 offset1:27
	ds_read2_b32 v[28:29], v42 offset0:54 offset1:108
	s_waitcnt lgkmcnt(0)
	v_lshrrev_b32_e32 v30, 16, v28
	s_waitcnt vmcnt(0)
	v_mul_f16_sdwa v32, v30, v31 dst_sel:DWORD dst_unused:UNUSED_PAD src0_sel:DWORD src1_sel:WORD_1
	v_fma_f16 v32, v28, v31, -v32
	v_mul_f16_sdwa v28, v28, v31 dst_sel:DWORD dst_unused:UNUSED_PAD src0_sel:DWORD src1_sel:WORD_1
	v_fma_f16 v28, v30, v31, v28
	v_pack_b32_f16 v28, v32, v28
	global_load_dword v32, v50, s[2:3] offset:324
	ds_read_b32 v30, v36 offset:324
	s_waitcnt lgkmcnt(0)
	v_lshrrev_b32_e32 v31, 16, v30
	s_waitcnt vmcnt(0)
	v_mul_f16_sdwa v33, v31, v32 dst_sel:DWORD dst_unused:UNUSED_PAD src0_sel:DWORD src1_sel:WORD_1
	v_fma_f16 v33, v30, v32, -v33
	v_mul_f16_sdwa v30, v30, v32 dst_sel:DWORD dst_unused:UNUSED_PAD src0_sel:DWORD src1_sel:WORD_1
	v_fma_f16 v30, v31, v32, v30
	global_load_dword v31, v50, s[2:3] offset:432
	v_pack_b32_f16 v30, v33, v30
	ds_write_b32 v36, v30 offset:324
	v_lshrrev_b32_e32 v30, 16, v29
	s_waitcnt vmcnt(0)
	v_mul_f16_sdwa v32, v30, v31 dst_sel:DWORD dst_unused:UNUSED_PAD src0_sel:DWORD src1_sel:WORD_1
	v_fma_f16 v32, v29, v31, -v32
	v_mul_f16_sdwa v29, v29, v31 dst_sel:DWORD dst_unused:UNUSED_PAD src0_sel:DWORD src1_sel:WORD_1
	v_fma_f16 v29, v30, v31, v29
	global_load_dword v31, v50, s[2:3] offset:540
	v_pack_b32_f16 v29, v32, v29
	ds_write2_b32 v42, v28, v29 offset0:54 offset1:108
	ds_read2_b32 v[28:29], v42 offset0:135 offset1:162
	s_waitcnt lgkmcnt(0)
	v_lshrrev_b32_e32 v30, 16, v28
	s_waitcnt vmcnt(0)
	v_mul_f16_sdwa v32, v30, v31 dst_sel:DWORD dst_unused:UNUSED_PAD src0_sel:DWORD src1_sel:WORD_1
	v_fma_f16 v32, v28, v31, -v32
	v_mul_f16_sdwa v28, v28, v31 dst_sel:DWORD dst_unused:UNUSED_PAD src0_sel:DWORD src1_sel:WORD_1
	v_fma_f16 v28, v30, v31, v28
	global_load_dword v31, v50, s[2:3] offset:648
	v_lshrrev_b32_e32 v30, 16, v29
	v_pack_b32_f16 v28, v32, v28
	s_waitcnt vmcnt(0)
	v_mul_f16_sdwa v32, v30, v31 dst_sel:DWORD dst_unused:UNUSED_PAD src0_sel:DWORD src1_sel:WORD_1
	v_fma_f16 v32, v29, v31, -v32
	v_mul_f16_sdwa v29, v29, v31 dst_sel:DWORD dst_unused:UNUSED_PAD src0_sel:DWORD src1_sel:WORD_1
	v_fma_f16 v29, v30, v31, v29
	global_load_dword v31, v50, s[2:3] offset:756
	v_pack_b32_f16 v29, v32, v29
	ds_write2_b32 v42, v28, v29 offset0:135 offset1:162
	ds_read2_b32 v[28:29], v42 offset0:189 offset1:216
	s_waitcnt lgkmcnt(0)
	v_lshrrev_b32_e32 v30, 16, v28
	s_waitcnt vmcnt(0)
	v_mul_f16_sdwa v32, v30, v31 dst_sel:DWORD dst_unused:UNUSED_PAD src0_sel:DWORD src1_sel:WORD_1
	v_fma_f16 v32, v28, v31, -v32
	v_mul_f16_sdwa v28, v28, v31 dst_sel:DWORD dst_unused:UNUSED_PAD src0_sel:DWORD src1_sel:WORD_1
	v_fma_f16 v28, v30, v31, v28
	global_load_dword v31, v50, s[2:3] offset:864
	v_lshrrev_b32_e32 v30, 16, v29
	v_pack_b32_f16 v28, v32, v28
	s_waitcnt vmcnt(0)
	v_mul_f16_sdwa v32, v30, v31 dst_sel:DWORD dst_unused:UNUSED_PAD src0_sel:DWORD src1_sel:WORD_1
	v_fma_f16 v32, v29, v31, -v32
	v_mul_f16_sdwa v29, v29, v31 dst_sel:DWORD dst_unused:UNUSED_PAD src0_sel:DWORD src1_sel:WORD_1
	v_fma_f16 v29, v30, v31, v29
	global_load_dword v30, v50, s[2:3] offset:972
	v_pack_b32_f16 v29, v32, v29
	ds_write2_b32 v42, v28, v29 offset0:189 offset1:216
	ds_read_b32 v28, v42 offset:972
	s_mov_b32 s2, 0xbb9c
	s_mov_b32 s3, 0xb8b4
	s_waitcnt lgkmcnt(0)
	v_lshrrev_b32_e32 v29, 16, v28
	s_waitcnt vmcnt(0)
	v_mul_f16_sdwa v31, v29, v30 dst_sel:DWORD dst_unused:UNUSED_PAD src0_sel:DWORD src1_sel:WORD_1
	v_fma_f16 v31, v28, v30, -v31
	v_mul_f16_sdwa v28, v28, v30 dst_sel:DWORD dst_unused:UNUSED_PAD src0_sel:DWORD src1_sel:WORD_1
	v_fma_f16 v28, v29, v30, v28
	v_pack_b32_f16 v28, v31, v28
	ds_write_b32 v42, v28 offset:972
	s_waitcnt lgkmcnt(0)
	s_barrier
	ds_read2_b32 v[28:29], v42 offset1:27
	ds_read2_b32 v[30:31], v42 offset0:54 offset1:108
	ds_read_b32 v50, v36 offset:324
	ds_read2_b32 v[32:33], v42 offset0:135 offset1:162
	ds_read2_b32 v[34:35], v42 offset0:189 offset1:216
	ds_read_b32 v60, v42 offset:972
	s_waitcnt lgkmcnt(4)
	v_sub_f16_e32 v66, v30, v31
	v_sub_f16_e32 v68, v31, v30
	s_waitcnt lgkmcnt(2)
	v_add_f16_e32 v61, v31, v33
	v_fma_f16 v61, v61, -0.5, v28
	s_waitcnt lgkmcnt(1)
	v_sub_f16_sdwa v62, v30, v35 dst_sel:DWORD dst_unused:UNUSED_PAD src0_sel:WORD_1 src1_sel:WORD_1
	v_fma_f16 v63, v62, s2, v61
	v_sub_f16_sdwa v64, v31, v33 dst_sel:DWORD dst_unused:UNUSED_PAD src0_sel:WORD_1 src1_sel:WORD_1
	v_sub_f16_e32 v65, v35, v33
	v_fma_f16 v61, v62, s7, v61
	v_fma_f16 v63, v64, s3, v63
	v_add_f16_e32 v65, v66, v65
	v_fma_f16 v61, v64, s12, v61
	v_fma_f16 v63, v65, s6, v63
	;; [unrolled: 1-line block ×3, first 2 shown]
	v_add_f16_e32 v65, v30, v35
	v_fma_f16 v65, v65, -0.5, v28
	v_fma_f16 v66, v64, s7, v65
	v_sub_f16_e32 v67, v33, v35
	v_fma_f16 v64, v64, s2, v65
	v_fma_f16 v66, v62, s3, v66
	v_add_f16_e32 v67, v68, v67
	v_fma_f16 v62, v62, s12, v64
	v_pk_add_f16 v64, v28, v30
	v_add_f16_sdwa v65, v31, v33 dst_sel:DWORD dst_unused:UNUSED_PAD src0_sel:WORD_1 src1_sel:WORD_1
	v_lshrrev_b32_e32 v28, 16, v28
	v_fma_f16 v66, v67, s6, v66
	v_fma_f16 v62, v67, s6, v62
	v_fma_f16 v65, v65, -0.5, v28
	v_sub_f16_e32 v67, v30, v35
	v_fma_f16 v68, v67, s7, v65
	v_sub_f16_e32 v69, v31, v33
	v_sub_f16_sdwa v70, v30, v31 dst_sel:DWORD dst_unused:UNUSED_PAD src0_sel:WORD_1 src1_sel:WORD_1
	v_sub_f16_sdwa v71, v35, v33 dst_sel:DWORD dst_unused:UNUSED_PAD src0_sel:WORD_1 src1_sel:WORD_1
	v_fma_f16 v65, v67, s2, v65
	v_fma_f16 v68, v69, s12, v68
	v_add_f16_e32 v70, v70, v71
	v_fma_f16 v65, v69, s3, v65
	v_fma_f16 v68, v70, s6, v68
	;; [unrolled: 1-line block ×3, first 2 shown]
	v_add_f16_sdwa v70, v30, v35 dst_sel:DWORD dst_unused:UNUSED_PAD src0_sel:WORD_1 src1_sel:WORD_1
	v_fma_f16 v28, v70, -0.5, v28
	v_pk_add_f16 v64, v64, v31
	v_fma_f16 v70, v69, s2, v28
	v_sub_f16_sdwa v30, v31, v30 dst_sel:DWORD dst_unused:UNUSED_PAD src0_sel:WORD_1 src1_sel:WORD_1
	v_sub_f16_sdwa v31, v33, v35 dst_sel:DWORD dst_unused:UNUSED_PAD src0_sel:WORD_1 src1_sel:WORD_1
	v_fma_f16 v28, v69, s7, v28
	v_fma_f16 v70, v67, s12, v70
	v_add_f16_e32 v30, v30, v31
	v_fma_f16 v28, v67, s3, v28
	v_fma_f16 v31, v30, s6, v70
	;; [unrolled: 1-line block ×3, first 2 shown]
	v_add_f16_e32 v28, v32, v34
	v_pk_add_f16 v64, v64, v33
	v_fma_f16 v28, v28, -0.5, v29
	s_waitcnt lgkmcnt(0)
	v_sub_f16_sdwa v33, v50, v60 dst_sel:DWORD dst_unused:UNUSED_PAD src0_sel:WORD_1 src1_sel:WORD_1
	v_pk_add_f16 v64, v64, v35
	v_fma_f16 v35, v33, s2, v28
	v_sub_f16_sdwa v67, v32, v34 dst_sel:DWORD dst_unused:UNUSED_PAD src0_sel:WORD_1 src1_sel:WORD_1
	v_sub_f16_e32 v69, v50, v32
	v_sub_f16_e32 v70, v60, v34
	v_fma_f16 v28, v33, s7, v28
	v_fma_f16 v35, v67, s3, v35
	v_add_f16_e32 v69, v69, v70
	v_fma_f16 v28, v67, s12, v28
	v_fma_f16 v35, v69, s6, v35
	;; [unrolled: 1-line block ×3, first 2 shown]
	v_add_f16_e32 v28, v50, v60
	v_fma_f16 v28, v28, -0.5, v29
	v_fma_f16 v70, v67, s7, v28
	v_sub_f16_e32 v71, v32, v50
	v_sub_f16_e32 v72, v34, v60
	v_fma_f16 v28, v67, s2, v28
	v_add_f16_e32 v71, v71, v72
	v_fma_f16 v28, v33, s12, v28
	v_fma_f16 v70, v33, s3, v70
	;; [unrolled: 1-line block ×3, first 2 shown]
	v_pk_add_f16 v28, v29, v50
	v_pk_add_f16 v28, v28, v32
	;; [unrolled: 1-line block ×4, first 2 shown]
	v_add_f16_sdwa v28, v32, v34 dst_sel:DWORD dst_unused:UNUSED_PAD src0_sel:WORD_1 src1_sel:WORD_1
	v_lshrrev_b32_e32 v29, 16, v29
	v_fma_f16 v70, v71, s6, v70
	v_fma_f16 v28, v28, -0.5, v29
	v_sub_f16_e32 v71, v50, v60
	v_fma_f16 v72, v71, s7, v28
	v_sub_f16_e32 v73, v32, v34
	v_sub_f16_sdwa v74, v50, v32 dst_sel:DWORD dst_unused:UNUSED_PAD src0_sel:WORD_1 src1_sel:WORD_1
	v_sub_f16_sdwa v75, v60, v34 dst_sel:DWORD dst_unused:UNUSED_PAD src0_sel:WORD_1 src1_sel:WORD_1
	v_fma_f16 v28, v71, s2, v28
	v_fma_f16 v72, v73, s12, v72
	v_add_f16_e32 v74, v74, v75
	v_fma_f16 v28, v73, s3, v28
	v_fma_f16 v72, v74, s6, v72
	;; [unrolled: 1-line block ×3, first 2 shown]
	v_add_f16_sdwa v28, v50, v60 dst_sel:DWORD dst_unused:UNUSED_PAD src0_sel:WORD_1 src1_sel:WORD_1
	v_fma_f16 v28, v28, -0.5, v29
	v_fma_f16 v29, v73, s2, v28
	v_sub_f16_sdwa v32, v32, v50 dst_sel:DWORD dst_unused:UNUSED_PAD src0_sel:WORD_1 src1_sel:WORD_1
	v_sub_f16_sdwa v34, v34, v60 dst_sel:DWORD dst_unused:UNUSED_PAD src0_sel:WORD_1 src1_sel:WORD_1
	v_fma_f16 v28, v73, s7, v28
	v_fma_f16 v29, v71, s12, v29
	v_add_f16_e32 v32, v32, v34
	v_fma_f16 v28, v71, s3, v28
	v_fma_f16 v29, v32, s6, v29
	;; [unrolled: 1-line block ×3, first 2 shown]
	v_mul_f16_e32 v28, 0xb8b4, v72
	s_movk_i32 s2, 0x3a79
	v_fma_f16 v34, v35, s2, v28
	v_mul_f16_e32 v28, 0xbb9c, v29
	v_fma_f16 v50, v70, s6, v28
	v_mul_f16_e32 v28, 0xbb9c, v32
	s_mov_b32 s3, 0xb4f2
	v_mul_f16_e32 v35, 0x38b4, v35
	v_mul_f16_e32 v29, 0x34f2, v29
	v_mul_f16_e32 v32, 0xb4f2, v32
	v_fma_f16 v60, v33, s3, v28
	v_mul_f16_e32 v28, 0xb8b4, v74
	s_mov_b32 s3, 0xba79
	v_fma_f16 v35, v72, s2, v35
	v_fma_f16 v29, v70, s7, v29
	;; [unrolled: 1-line block ×3, first 2 shown]
	v_mul_f16_e32 v74, 0xba79, v74
	v_add_f16_e32 v71, v63, v34
	v_add_f16_e32 v73, v66, v50
	;; [unrolled: 1-line block ×3, first 2 shown]
	v_fma_f16 v76, v69, s3, v28
	v_add_f16_e32 v72, v68, v35
	v_add_f16_e32 v70, v31, v29
	;; [unrolled: 1-line block ×3, first 2 shown]
	v_fma_f16 v69, v69, s12, v74
	v_add_f16_e32 v77, v61, v76
	v_pk_add_f16 v28, v64, v67
	v_add_f16_e32 v74, v65, v69
	v_sub_f16_e32 v34, v63, v34
	v_sub_f16_e32 v63, v66, v50
	;; [unrolled: 1-line block ×6, first 2 shown]
	v_pack_b32_f16 v31, v75, v33
	v_pack_b32_f16 v30, v73, v70
	;; [unrolled: 1-line block ×3, first 2 shown]
	v_sub_f16_e32 v62, v62, v60
	v_sub_f16_e32 v60, v65, v69
	s_barrier
	ds_write2_b64 v51, v[28:29], v[30:31] offset1:1
	v_pk_add_f16 v29, v64, v67 neg_lo:[0,1] neg_hi:[0,1]
	v_pack_b32_f16 v31, v63, v61
	v_pack_b32_f16 v30, v34, v35
	;; [unrolled: 1-line block ×3, first 2 shown]
	ds_write2_b64 v51, v[28:29], v[30:31] offset0:2 offset1:3
	v_pack_b32_f16 v29, v50, v60
	v_pack_b32_f16 v28, v62, v32
	ds_write_b64 v51, v[28:29] offset:32
	s_waitcnt lgkmcnt(0)
	s_barrier
	ds_read2_b32 v[30:31], v42 offset1:27
	ds_read2_b32 v[28:29], v42 offset0:54 offset1:90
	ds_read2_b32 v[34:35], v42 offset0:180 offset1:207
	;; [unrolled: 1-line block ×3, first 2 shown]
	ds_read_b32 v51, v42 offset:936
	s_and_saveexec_b64 s[2:3], s[0:1]
	s_cbranch_execz .LBB0_15
; %bb.14:
	v_add_u32_e32 v26, 0x200, v42
	ds_read_b32 v50, v36 offset:324
	ds_read2_b32 v[26:27], v26 offset0:43 offset1:133
	s_waitcnt lgkmcnt(1)
	v_lshrrev_b32_e32 v60, 16, v50
	s_waitcnt lgkmcnt(0)
	v_lshrrev_b32_e32 v37, 16, v26
	v_lshrrev_b32_e32 v59, 16, v27
.LBB0_15:
	s_or_b64 exec, exec, s[2:3]
	s_waitcnt lgkmcnt(3)
	v_lshrrev_b32_e32 v62, 16, v29
	v_mul_f16_sdwa v70, v8, v62 dst_sel:DWORD dst_unused:UNUSED_PAD src0_sel:WORD_1 src1_sel:DWORD
	s_waitcnt lgkmcnt(2)
	v_lshrrev_b32_e32 v63, 16, v34
	v_fma_f16 v70, v8, v29, v70
	v_mul_f16_sdwa v29, v8, v29 dst_sel:DWORD dst_unused:UNUSED_PAD src0_sel:WORD_1 src1_sel:DWORD
	v_fma_f16 v8, v8, v62, -v29
	v_mul_f16_sdwa v29, v9, v63 dst_sel:DWORD dst_unused:UNUSED_PAD src0_sel:WORD_1 src1_sel:DWORD
	s_waitcnt lgkmcnt(1)
	v_lshrrev_b32_e32 v65, 16, v32
	v_fma_f16 v29, v9, v34, v29
	v_mul_f16_sdwa v34, v9, v34 dst_sel:DWORD dst_unused:UNUSED_PAD src0_sel:WORD_1 src1_sel:DWORD
	v_fma_f16 v9, v9, v63, -v34
	v_mul_f16_sdwa v34, v6, v65 dst_sel:DWORD dst_unused:UNUSED_PAD src0_sel:WORD_1 src1_sel:DWORD
	v_lshrrev_b32_e32 v66, 16, v35
	v_fma_f16 v34, v6, v32, v34
	v_mul_f16_sdwa v32, v6, v32 dst_sel:DWORD dst_unused:UNUSED_PAD src0_sel:WORD_1 src1_sel:DWORD
	v_fma_f16 v6, v6, v65, -v32
	v_mul_f16_sdwa v32, v7, v66 dst_sel:DWORD dst_unused:UNUSED_PAD src0_sel:WORD_1 src1_sel:DWORD
	;; [unrolled: 5-line block ×3, first 2 shown]
	s_waitcnt lgkmcnt(0)
	v_lshrrev_b32_e32 v69, 16, v51
	v_fma_f16 v35, v2, v33, v35
	v_mul_f16_sdwa v33, v2, v33 dst_sel:DWORD dst_unused:UNUSED_PAD src0_sel:WORD_1 src1_sel:DWORD
	v_fma_f16 v2, v2, v68, -v33
	v_mul_f16_sdwa v33, v3, v69 dst_sel:DWORD dst_unused:UNUSED_PAD src0_sel:WORD_1 src1_sel:DWORD
	v_fma_f16 v33, v3, v51, v33
	v_mul_f16_sdwa v51, v3, v51 dst_sel:DWORD dst_unused:UNUSED_PAD src0_sel:WORD_1 src1_sel:DWORD
	v_fma_f16 v3, v3, v69, -v51
	v_mul_f16_sdwa v51, v4, v37 dst_sel:DWORD dst_unused:UNUSED_PAD src0_sel:WORD_1 src1_sel:DWORD
	;; [unrolled: 4-line block ×3, first 2 shown]
	v_fma_f16 v26, v5, v27, v26
	v_mul_f16_sdwa v27, v5, v27 dst_sel:DWORD dst_unused:UNUSED_PAD src0_sel:WORD_1 src1_sel:DWORD
	v_add_f16_e32 v37, v70, v29
	v_lshrrev_b32_e32 v61, 16, v30
	v_fma_f16 v5, v5, v59, -v27
	v_add_f16_e32 v27, v30, v70
	v_fma_f16 v30, v37, -0.5, v30
	v_sub_f16_e32 v37, v8, v9
	s_mov_b32 s2, 0xbaee
	s_movk_i32 s3, 0x3aee
	v_fma_f16 v59, v37, s2, v30
	v_fma_f16 v37, v37, s3, v30
	v_add_f16_e32 v30, v61, v8
	v_add_f16_e32 v27, v27, v29
	;; [unrolled: 1-line block ×4, first 2 shown]
	v_sub_f16_e32 v9, v70, v29
	v_add_f16_e32 v29, v34, v32
	v_lshrrev_b32_e32 v64, 16, v31
	v_fma_f16 v29, v29, -0.5, v31
	v_sub_f16_e32 v30, v6, v7
	v_fma_f16 v8, v8, -0.5, v61
	v_fma_f16 v63, v30, s2, v29
	v_fma_f16 v65, v30, s3, v29
	v_add_f16_e32 v29, v64, v6
	v_add_f16_e32 v6, v6, v7
	v_fma_f16 v61, v9, s3, v8
	v_fma_f16 v8, v9, s2, v8
	v_add_f16_e32 v9, v31, v34
	v_add_f16_e32 v66, v29, v7
	v_fma_f16 v6, v6, -0.5, v64
	v_sub_f16_e32 v7, v34, v32
	v_add_f16_e32 v29, v35, v33
	v_lshrrev_b32_e32 v67, 16, v28
	v_add_f16_e32 v9, v9, v32
	v_fma_f16 v32, v7, s3, v6
	v_fma_f16 v6, v7, s2, v6
	v_add_f16_e32 v7, v28, v35
	v_fma_f16 v28, v29, -0.5, v28
	v_sub_f16_e32 v29, v2, v3
	v_fma_f16 v34, v29, s2, v28
	v_fma_f16 v64, v29, s3, v28
	v_add_f16_e32 v28, v67, v2
	v_add_f16_e32 v2, v2, v3
	;; [unrolled: 1-line block ×3, first 2 shown]
	v_fma_f16 v2, v2, -0.5, v67
	v_sub_f16_e32 v3, v35, v33
	v_add_f16_e32 v7, v7, v33
	v_fma_f16 v33, v3, s3, v2
	v_fma_f16 v35, v3, s2, v2
	v_add_f16_e32 v2, v50, v51
	v_add_f16_e32 v28, v2, v26
	;; [unrolled: 1-line block ×3, first 2 shown]
	v_fma_f16 v3, v2, -0.5, v50
	v_sub_f16_e32 v29, v4, v5
	v_fma_f16 v2, v29, s2, v3
	v_fma_f16 v3, v29, s3, v3
	v_add_f16_e32 v29, v60, v4
	v_add_f16_e32 v4, v4, v5
	;; [unrolled: 1-line block ×3, first 2 shown]
	v_fma_f16 v4, v4, -0.5, v60
	v_sub_f16_e32 v5, v51, v26
	v_fma_f16 v30, v5, s3, v4
	v_fma_f16 v31, v5, s2, v4
	v_pack_b32_f16 v4, v27, v62
	v_pack_b32_f16 v5, v59, v61
	s_barrier
	ds_write2_b32 v54, v4, v5 offset1:10
	v_pack_b32_f16 v4, v37, v8
	ds_write_b32 v54, v4 offset:80
	v_pack_b32_f16 v4, v9, v66
	v_pack_b32_f16 v5, v63, v32
	ds_write2_b32 v55, v4, v5 offset1:10
	v_pack_b32_f16 v4, v65, v6
	ds_write_b32 v55, v4 offset:80
	v_pack_b32_f16 v4, v7, v68
	v_pack_b32_f16 v5, v34, v33
	ds_write2_b32 v56, v4, v5 offset1:10
	v_pack_b32_f16 v4, v64, v35
	ds_write_b32 v56, v4 offset:80
	s_and_saveexec_b64 s[2:3], s[0:1]
	s_cbranch_execz .LBB0_17
; %bb.16:
	v_and_b32_e32 v4, 0xff, v52
	s_mov_b32 s6, 0x5040100
	v_lshl_add_u32 v4, v4, 2, v49
	v_perm_b32 v5, v29, v28, s6
	v_perm_b32 v6, v30, v2, s6
	ds_write2_b32 v4, v5, v6 offset0:240 offset1:250
	v_perm_b32 v5, v31, v3, s6
	ds_write_b32 v4, v5 offset:1040
.LBB0_17:
	s_or_b64 exec, exec, s[2:3]
	s_waitcnt lgkmcnt(0)
	s_barrier
	ds_read2_b32 v[6:7], v42 offset1:27
	ds_read2_b32 v[4:5], v42 offset0:54 offset1:90
	ds_read2_b32 v[26:27], v42 offset0:180 offset1:207
	;; [unrolled: 1-line block ×3, first 2 shown]
	ds_read_b32 v32, v42 offset:936
	s_and_saveexec_b64 s[2:3], s[0:1]
	s_cbranch_execz .LBB0_19
; %bb.18:
	v_add_u32_e32 v2, 0x200, v42
	ds_read_b32 v28, v36 offset:324
	ds_read2_b32 v[2:3], v2 offset0:43 offset1:133
	s_waitcnt lgkmcnt(1)
	v_lshrrev_b32_e32 v29, 16, v28
	s_waitcnt lgkmcnt(0)
	v_lshrrev_b32_e32 v30, 16, v2
	v_lshrrev_b32_e32 v31, 16, v3
.LBB0_19:
	s_or_b64 exec, exec, s[2:3]
	s_waitcnt lgkmcnt(3)
	v_lshrrev_b32_e32 v34, 16, v5
	v_mul_f16_sdwa v56, v10, v34 dst_sel:DWORD dst_unused:UNUSED_PAD src0_sel:WORD_1 src1_sel:DWORD
	s_waitcnt lgkmcnt(2)
	v_lshrrev_b32_e32 v35, 16, v26
	v_fma_f16 v56, v10, v5, v56
	v_mul_f16_sdwa v5, v10, v5 dst_sel:DWORD dst_unused:UNUSED_PAD src0_sel:WORD_1 src1_sel:DWORD
	v_fma_f16 v5, v10, v34, -v5
	v_mul_f16_sdwa v10, v11, v35 dst_sel:DWORD dst_unused:UNUSED_PAD src0_sel:WORD_1 src1_sel:DWORD
	s_waitcnt lgkmcnt(1)
	v_lshrrev_b32_e32 v50, 16, v8
	v_fma_f16 v10, v11, v26, v10
	v_mul_f16_sdwa v26, v11, v26 dst_sel:DWORD dst_unused:UNUSED_PAD src0_sel:WORD_1 src1_sel:DWORD
	v_fma_f16 v11, v11, v35, -v26
	v_mul_f16_sdwa v26, v14, v50 dst_sel:DWORD dst_unused:UNUSED_PAD src0_sel:WORD_1 src1_sel:DWORD
	v_lshrrev_b32_e32 v51, 16, v27
	v_fma_f16 v26, v14, v8, v26
	v_mul_f16_sdwa v8, v14, v8 dst_sel:DWORD dst_unused:UNUSED_PAD src0_sel:WORD_1 src1_sel:DWORD
	v_fma_f16 v8, v14, v50, -v8
	v_mul_f16_sdwa v14, v15, v51 dst_sel:DWORD dst_unused:UNUSED_PAD src0_sel:WORD_1 src1_sel:DWORD
	;; [unrolled: 5-line block ×3, first 2 shown]
	s_waitcnt lgkmcnt(0)
	v_lshrrev_b32_e32 v55, 16, v32
	v_fma_f16 v27, v12, v9, v27
	v_mul_f16_sdwa v9, v12, v9 dst_sel:DWORD dst_unused:UNUSED_PAD src0_sel:WORD_1 src1_sel:DWORD
	v_fma_f16 v9, v12, v54, -v9
	v_mul_f16_sdwa v12, v13, v55 dst_sel:DWORD dst_unused:UNUSED_PAD src0_sel:WORD_1 src1_sel:DWORD
	v_fma_f16 v12, v13, v32, v12
	v_mul_f16_sdwa v32, v13, v32 dst_sel:DWORD dst_unused:UNUSED_PAD src0_sel:WORD_1 src1_sel:DWORD
	v_fma_f16 v13, v13, v55, -v32
	v_mul_f16_sdwa v32, v16, v30 dst_sel:DWORD dst_unused:UNUSED_PAD src0_sel:WORD_1 src1_sel:DWORD
	;; [unrolled: 4-line block ×3, first 2 shown]
	v_fma_f16 v30, v17, v3, v2
	v_mul_f16_sdwa v2, v17, v3 dst_sel:DWORD dst_unused:UNUSED_PAD src0_sel:WORD_1 src1_sel:DWORD
	v_fma_f16 v17, v17, v31, -v2
	v_add_f16_e32 v2, v6, v56
	v_add_f16_e32 v31, v2, v10
	;; [unrolled: 1-line block ×3, first 2 shown]
	v_lshrrev_b32_e32 v33, 16, v6
	v_fma_f16 v2, v2, -0.5, v6
	v_sub_f16_e32 v3, v5, v11
	s_mov_b32 s2, 0xbaee
	s_movk_i32 s3, 0x3aee
	v_fma_f16 v6, v3, s2, v2
	v_fma_f16 v34, v3, s3, v2
	v_add_f16_e32 v2, v33, v5
	v_add_f16_e32 v35, v2, v11
	;; [unrolled: 1-line block ×3, first 2 shown]
	v_fma_f16 v2, v2, -0.5, v33
	v_sub_f16_e32 v3, v56, v10
	v_fma_f16 v5, v3, s3, v2
	v_fma_f16 v10, v3, s2, v2
	v_add_f16_e32 v2, v7, v26
	v_add_f16_e32 v11, v2, v14
	;; [unrolled: 1-line block ×3, first 2 shown]
	v_lshrrev_b32_e32 v37, 16, v7
	v_fma_f16 v2, v2, -0.5, v7
	v_sub_f16_e32 v3, v8, v15
	v_fma_f16 v7, v3, s2, v2
	v_fma_f16 v33, v3, s3, v2
	v_add_f16_e32 v2, v37, v8
	v_add_f16_e32 v50, v2, v15
	;; [unrolled: 1-line block ×3, first 2 shown]
	v_fma_f16 v2, v2, -0.5, v37
	v_sub_f16_e32 v3, v26, v14
	v_fma_f16 v8, v3, s3, v2
	v_fma_f16 v26, v3, s2, v2
	v_add_f16_e32 v2, v4, v27
	v_add_f16_e32 v37, v2, v12
	;; [unrolled: 1-line block ×3, first 2 shown]
	v_lshrrev_b32_e32 v52, 16, v4
	v_fma_f16 v2, v2, -0.5, v4
	v_sub_f16_e32 v3, v9, v13
	v_fma_f16 v4, v3, s2, v2
	v_fma_f16 v51, v3, s3, v2
	v_add_f16_e32 v2, v52, v9
	v_add_f16_e32 v54, v2, v13
	;; [unrolled: 1-line block ×3, first 2 shown]
	v_fma_f16 v2, v2, -0.5, v52
	v_sub_f16_e32 v3, v27, v12
	v_fma_f16 v9, v3, s3, v2
	v_fma_f16 v27, v3, s2, v2
	v_add_f16_e32 v2, v28, v32
	v_add_f16_e32 v12, v2, v30
	;; [unrolled: 1-line block ×3, first 2 shown]
	v_fma_f16 v3, v2, -0.5, v28
	v_sub_f16_e32 v13, v16, v17
	v_add_f16_e32 v14, v16, v17
	v_fma_f16 v2, v13, s2, v3
	v_fma_f16 v3, v13, s3, v3
	v_add_f16_e32 v13, v29, v16
	v_fma_f16 v15, v14, -0.5, v29
	v_sub_f16_e32 v16, v32, v30
	v_fma_f16 v14, v16, s3, v15
	v_fma_f16 v15, v16, s2, v15
	v_pack_b32_f16 v16, v31, v35
	v_pack_b32_f16 v5, v6, v5
	s_barrier
	ds_write2_b32 v42, v16, v5 offset1:30
	v_pack_b32_f16 v5, v34, v10
	ds_write_b32 v42, v5 offset:240
	v_pack_b32_f16 v5, v11, v50
	v_pack_b32_f16 v6, v7, v8
	ds_write2_b32 v57, v5, v6 offset1:30
	v_pack_b32_f16 v5, v33, v26
	ds_write_b32 v57, v5 offset:240
	v_pack_b32_f16 v5, v37, v54
	v_pack_b32_f16 v4, v4, v9
	v_add_f16_e32 v13, v13, v17
	ds_write2_b32 v58, v5, v4 offset1:30
	v_pack_b32_f16 v4, v51, v27
	ds_write_b32 v58, v4 offset:240
	s_and_saveexec_b64 s[2:3], s[0:1]
	s_cbranch_execz .LBB0_21
; %bb.20:
	v_and_b32_e32 v4, 0xff, v53
	s_mov_b32 s6, 0x5040100
	v_lshl_add_u32 v4, v4, 2, v49
	v_perm_b32 v5, v13, v12, s6
	v_perm_b32 v6, v14, v2, s6
	ds_write2_b32 v4, v5, v6 offset0:180 offset1:210
	v_perm_b32 v5, v15, v3, s6
	ds_write_b32 v4, v5 offset:960
.LBB0_21:
	s_or_b64 exec, exec, s[2:3]
	s_waitcnt lgkmcnt(0)
	s_barrier
	ds_read2_b32 v[6:7], v42 offset1:27
	ds_read2_b32 v[4:5], v42 offset0:54 offset1:90
	ds_read2_b32 v[10:11], v42 offset0:180 offset1:207
	;; [unrolled: 1-line block ×3, first 2 shown]
	ds_read_b32 v17, v42 offset:936
	v_add_u32_e32 v16, 0xd8, v42
	s_and_saveexec_b64 s[2:3], s[0:1]
	s_cbranch_execz .LBB0_23
; %bb.22:
	v_add_u32_e32 v2, 0x200, v42
	ds_read_b32 v12, v36 offset:324
	ds_read2_b32 v[2:3], v2 offset0:43 offset1:133
	s_waitcnt lgkmcnt(1)
	v_lshrrev_b32_e32 v13, 16, v12
	s_waitcnt lgkmcnt(0)
	v_lshrrev_b32_e32 v14, 16, v2
	v_lshrrev_b32_e32 v15, 16, v3
.LBB0_23:
	s_or_b64 exec, exec, s[2:3]
	s_waitcnt lgkmcnt(3)
	v_lshrrev_b32_e32 v27, 16, v5
	v_mul_f16_sdwa v35, v20, v27 dst_sel:DWORD dst_unused:UNUSED_PAD src0_sel:WORD_1 src1_sel:DWORD
	s_waitcnt lgkmcnt(2)
	v_lshrrev_b32_e32 v28, 16, v10
	v_fma_f16 v35, v20, v5, v35
	v_mul_f16_sdwa v5, v20, v5 dst_sel:DWORD dst_unused:UNUSED_PAD src0_sel:WORD_1 src1_sel:DWORD
	v_fma_f16 v5, v20, v27, -v5
	v_mul_f16_sdwa v20, v21, v28 dst_sel:DWORD dst_unused:UNUSED_PAD src0_sel:WORD_1 src1_sel:DWORD
	s_waitcnt lgkmcnt(1)
	v_lshrrev_b32_e32 v30, 16, v8
	v_fma_f16 v20, v21, v10, v20
	v_mul_f16_sdwa v10, v21, v10 dst_sel:DWORD dst_unused:UNUSED_PAD src0_sel:WORD_1 src1_sel:DWORD
	v_fma_f16 v10, v21, v28, -v10
	v_mul_f16_sdwa v21, v22, v30 dst_sel:DWORD dst_unused:UNUSED_PAD src0_sel:WORD_1 src1_sel:DWORD
	v_lshrrev_b32_e32 v31, 16, v11
	v_fma_f16 v21, v22, v8, v21
	v_mul_f16_sdwa v8, v22, v8 dst_sel:DWORD dst_unused:UNUSED_PAD src0_sel:WORD_1 src1_sel:DWORD
	v_fma_f16 v8, v22, v30, -v8
	v_mul_f16_sdwa v22, v23, v31 dst_sel:DWORD dst_unused:UNUSED_PAD src0_sel:WORD_1 src1_sel:DWORD
	v_lshrrev_b32_e32 v33, 16, v9
	v_fma_f16 v22, v23, v11, v22
	v_mul_f16_sdwa v11, v23, v11 dst_sel:DWORD dst_unused:UNUSED_PAD src0_sel:WORD_1 src1_sel:DWORD
	v_fma_f16 v11, v23, v31, -v11
	v_mul_f16_sdwa v23, v24, v33 dst_sel:DWORD dst_unused:UNUSED_PAD src0_sel:WORD_1 src1_sel:DWORD
	s_waitcnt lgkmcnt(0)
	v_lshrrev_b32_e32 v34, 16, v17
	v_fma_f16 v23, v24, v9, v23
	v_mul_f16_sdwa v9, v24, v9 dst_sel:DWORD dst_unused:UNUSED_PAD src0_sel:WORD_1 src1_sel:DWORD
	v_fma_f16 v9, v24, v33, -v9
	v_mul_f16_sdwa v24, v25, v34 dst_sel:DWORD dst_unused:UNUSED_PAD src0_sel:WORD_1 src1_sel:DWORD
	v_fma_f16 v24, v25, v17, v24
	v_mul_f16_sdwa v17, v25, v17 dst_sel:DWORD dst_unused:UNUSED_PAD src0_sel:WORD_1 src1_sel:DWORD
	v_add_f16_e32 v27, v35, v20
	v_lshrrev_b32_e32 v26, 16, v6
	v_fma_f16 v17, v25, v34, -v17
	v_add_f16_e32 v25, v6, v35
	v_fma_f16 v6, v27, -0.5, v6
	v_sub_f16_e32 v27, v5, v10
	s_mov_b32 s6, 0xbaee
	s_movk_i32 s7, 0x3aee
	v_fma_f16 v28, v27, s6, v6
	v_fma_f16 v6, v27, s7, v6
	v_add_f16_e32 v27, v26, v5
	v_add_f16_e32 v5, v5, v10
	;; [unrolled: 1-line block ×3, first 2 shown]
	v_fma_f16 v5, v5, -0.5, v26
	v_sub_f16_e32 v10, v35, v20
	v_add_f16_e32 v26, v21, v22
	v_lshrrev_b32_e32 v29, 16, v7
	v_add_f16_e32 v25, v25, v20
	v_fma_f16 v20, v10, s7, v5
	v_fma_f16 v5, v10, s6, v5
	v_add_f16_e32 v10, v7, v21
	v_fma_f16 v7, v26, -0.5, v7
	v_sub_f16_e32 v26, v8, v11
	v_fma_f16 v30, v26, s6, v7
	v_fma_f16 v7, v26, s7, v7
	v_add_f16_e32 v26, v29, v8
	v_add_f16_e32 v8, v8, v11
	;; [unrolled: 1-line block ×4, first 2 shown]
	v_fma_f16 v8, v8, -0.5, v29
	v_sub_f16_e32 v11, v21, v22
	v_add_f16_e32 v22, v23, v24
	v_lshrrev_b32_e32 v32, 16, v4
	v_fma_f16 v21, v11, s7, v8
	v_fma_f16 v8, v11, s6, v8
	v_add_f16_e32 v11, v4, v23
	v_fma_f16 v4, v22, -0.5, v4
	v_sub_f16_e32 v22, v9, v17
	v_fma_f16 v29, v22, s6, v4
	v_fma_f16 v4, v22, s7, v4
	v_add_f16_e32 v22, v32, v9
	v_add_f16_e32 v9, v9, v17
	;; [unrolled: 1-line block ×3, first 2 shown]
	v_fma_f16 v9, v9, -0.5, v32
	v_sub_f16_e32 v17, v23, v24
	v_fma_f16 v23, v17, s7, v9
	v_fma_f16 v9, v17, s6, v9
	v_pack_b32_f16 v17, v25, v27
	v_pack_b32_f16 v5, v6, v5
	ds_write_b32 v42, v17
	v_pack_b32_f16 v17, v28, v20
	ds_write_b32 v36, v5 offset:720
	v_pack_b32_f16 v5, v10, v26
	ds_write_b32 v36, v17 offset:360
	ds_write_b32 v42, v5 offset:108
	v_pack_b32_f16 v5, v30, v21
	v_add_f16_e32 v11, v11, v24
	ds_write_b32 v36, v5 offset:468
	v_pack_b32_f16 v5, v7, v8
	ds_write_b32 v36, v5 offset:828
	v_pack_b32_f16 v5, v11, v22
	;; [unrolled: 2-line block ×3, first 2 shown]
	v_pack_b32_f16 v4, v4, v9
	ds_write2_b32 v16, v5, v4 offset0:90 offset1:180
	s_and_saveexec_b64 s[2:3], s[0:1]
	s_cbranch_execz .LBB0_25
; %bb.24:
	v_mul_f16_sdwa v4, v18, v2 dst_sel:DWORD dst_unused:UNUSED_PAD src0_sel:WORD_1 src1_sel:DWORD
	v_mul_f16_sdwa v5, v19, v3 dst_sel:DWORD dst_unused:UNUSED_PAD src0_sel:WORD_1 src1_sel:DWORD
	;; [unrolled: 1-line block ×3, first 2 shown]
	v_fma_f16 v4, v18, v14, -v4
	v_fma_f16 v5, v19, v15, -v5
	v_fma_f16 v2, v18, v2, v7
	v_mul_f16_sdwa v7, v19, v15 dst_sel:DWORD dst_unused:UNUSED_PAD src0_sel:WORD_1 src1_sel:DWORD
	v_add_f16_e32 v6, v4, v5
	v_fma_f16 v3, v19, v3, v7
	v_fma_f16 v6, v6, -0.5, v13
	v_sub_f16_e32 v7, v2, v3
	v_fma_f16 v8, v7, s6, v6
	v_fma_f16 v6, v7, s7, v6
	v_add_f16_e32 v7, v13, v4
	v_add_f16_e32 v9, v2, v3
	;; [unrolled: 1-line block ×4, first 2 shown]
	v_fma_f16 v9, v9, -0.5, v12
	v_sub_f16_e32 v4, v4, v5
	v_add_f16_e32 v2, v2, v3
	v_fma_f16 v5, v4, s7, v9
	v_fma_f16 v4, v4, s6, v9
	v_pack_b32_f16 v2, v2, v7
	ds_write_b32 v36, v2 offset:324
	v_pack_b32_f16 v2, v4, v6
	v_pack_b32_f16 v3, v5, v8
	v_add_u32_e32 v4, 0x200, v36
	ds_write2_b32 v4, v2, v3 offset0:43 offset1:133
.LBB0_25:
	s_or_b64 exec, exec, s[2:3]
	s_waitcnt lgkmcnt(0)
	s_barrier
	ds_read2_b32 v[2:3], v42 offset1:27
	s_mov_b32 s2, 0xc901e574
	s_mov_b32 s3, 0x3f6e573a
	v_mad_u64_u32 v[7:8], s[0:1], s10, v1, 0
	s_waitcnt lgkmcnt(0)
	v_lshrrev_b32_e32 v10, 16, v2
	v_mul_f16_sdwa v4, v48, v10 dst_sel:DWORD dst_unused:UNUSED_PAD src0_sel:WORD_1 src1_sel:DWORD
	v_fma_f16 v4, v48, v2, v4
	v_cvt_f32_f16_e32 v4, v4
	v_mov_b32_e32 v6, v8
	s_movk_i32 s6, 0x1ff
	v_mad_u64_u32 v[8:9], s[0:1], s11, v1, v[6:7]
	v_cvt_f64_f32_e32 v[4:5], v4
	s_movk_i32 s7, 0xffe
	v_mul_f16_sdwa v2, v48, v2 dst_sel:DWORD dst_unused:UNUSED_PAD src0_sel:WORD_1 src1_sel:DWORD
	v_fma_f16 v2, v48, v10, -v2
	v_mul_f64 v[4:5], v[4:5], s[2:3]
	v_cvt_f32_f16_e32 v2, v2
	s_movk_i32 s10, 0x40f
	s_mov_b32 s11, 0x8000
	v_lshrrev_b32_e32 v12, 16, v3
	v_lshlrev_b64 v[7:8], 2, v[7:8]
	v_and_or_b32 v1, v5, s6, v4
	v_cmp_ne_u32_e32 vcc, 0, v1
	v_lshrrev_b32_e32 v4, 8, v5
	v_bfe_u32 v6, v5, 20, 11
	v_cndmask_b32_e64 v1, 0, 1, vcc
	v_sub_u32_e32 v9, 0x3f1, v6
	v_and_or_b32 v4, v4, s7, v1
	v_or_b32_e32 v1, 0x1000, v4
	v_med3_i32 v9, v9, 0, 13
	v_lshrrev_b32_e32 v11, v9, v1
	v_lshlrev_b32_e32 v9, v9, v11
	v_cmp_ne_u32_e32 vcc, v9, v1
	v_cndmask_b32_e64 v1, 0, 1, vcc
	v_add_u32_e32 v9, 0xfffffc10, v6
	v_or_b32_e32 v1, v11, v1
	v_lshl_or_b32 v6, v9, 12, v4
	v_cmp_gt_i32_e32 vcc, 1, v9
	v_cndmask_b32_e32 v1, v6, v1, vcc
	v_and_b32_e32 v6, 7, v1
	v_cmp_lt_i32_e32 vcc, 5, v6
	v_cmp_eq_u32_e64 s[0:1], 3, v6
	v_lshrrev_b32_e32 v1, 2, v1
	s_or_b64 vcc, s[0:1], vcc
	v_addc_co_u32_e32 v10, vcc, 0, v1, vcc
	v_cvt_f64_f32_e32 v[1:2], v2
	v_mov_b32_e32 v6, 0x7c00
	v_cmp_gt_i32_e32 vcc, 31, v9
	v_cndmask_b32_e32 v10, v6, v10, vcc
	v_mul_f64 v[1:2], v[1:2], s[2:3]
	v_cmp_ne_u32_e32 vcc, 0, v4
	v_cndmask_b32_e64 v4, 0, 1, vcc
	v_lshl_or_b32 v4, v4, 9, v6
	v_cmp_eq_u32_e32 vcc, s10, v9
	v_cndmask_b32_e32 v4, v10, v4, vcc
	v_lshrrev_b32_e32 v5, 16, v5
	v_and_or_b32 v9, v5, s11, v4
	v_and_or_b32 v1, v2, s6, v1
	v_cmp_ne_u32_e32 vcc, 0, v1
	v_cndmask_b32_e64 v1, 0, 1, vcc
	v_lshrrev_b32_e32 v4, 8, v2
	v_bfe_u32 v5, v2, 20, 11
	v_and_or_b32 v1, v4, s7, v1
	v_sub_u32_e32 v10, 0x3f1, v5
	v_or_b32_e32 v4, 0x1000, v1
	v_med3_i32 v10, v10, 0, 13
	v_lshrrev_b32_e32 v11, v10, v4
	v_lshlrev_b32_e32 v10, v10, v11
	v_cmp_ne_u32_e32 vcc, v10, v4
	v_cndmask_b32_e64 v4, 0, 1, vcc
	v_add_u32_e32 v10, 0xfffffc10, v5
	v_or_b32_e32 v4, v11, v4
	v_lshl_or_b32 v5, v10, 12, v1
	v_cmp_gt_i32_e32 vcc, 1, v10
	v_cndmask_b32_e32 v4, v5, v4, vcc
	v_and_b32_e32 v5, 7, v4
	v_cmp_lt_i32_e32 vcc, 5, v5
	v_cmp_eq_u32_e64 s[0:1], 3, v5
	v_lshrrev_b32_e32 v4, 2, v4
	s_or_b64 vcc, s[0:1], vcc
	v_addc_co_u32_e32 v4, vcc, 0, v4, vcc
	v_cmp_gt_i32_e32 vcc, 31, v10
	v_cndmask_b32_e32 v11, v6, v4, vcc
	v_mad_u64_u32 v[4:5], s[0:1], s8, v47, 0
	v_cmp_ne_u32_e32 vcc, 0, v1
	v_cndmask_b32_e64 v1, 0, 1, vcc
	v_lshl_or_b32 v1, v1, 9, v6
	v_cmp_eq_u32_e32 vcc, s10, v10
	v_cndmask_b32_e32 v10, v11, v1, vcc
	v_mov_b32_e32 v1, v5
	v_lshrrev_b32_e32 v11, 16, v2
	v_mad_u64_u32 v[1:2], s[0:1], s9, v47, v[1:2]
	v_mul_f16_sdwa v2, v0, v12 dst_sel:DWORD dst_unused:UNUSED_PAD src0_sel:WORD_1 src1_sel:DWORD
	v_fma_f16 v2, v0, v3, v2
	v_cvt_f32_f16_e32 v2, v2
	v_mov_b32_e32 v5, v1
	v_and_or_b32 v10, v11, s11, v10
	v_and_b32_e32 v9, 0xffff, v9
	v_cvt_f64_f32_e32 v[1:2], v2
	v_lshl_or_b32 v9, v10, 16, v9
	v_mov_b32_e32 v10, s5
	v_add_co_u32_e32 v7, vcc, s4, v7
	v_mul_f64 v[1:2], v[1:2], s[2:3]
	v_lshlrev_b64 v[4:5], 2, v[4:5]
	v_addc_co_u32_e32 v8, vcc, v10, v8, vcc
	v_add_co_u32_e32 v4, vcc, v7, v4
	v_addc_co_u32_e32 v5, vcc, v8, v5, vcc
	v_and_or_b32 v1, v2, s6, v1
	v_cmp_ne_u32_e32 vcc, 0, v1
	v_cndmask_b32_e64 v1, 0, 1, vcc
	v_lshrrev_b32_e32 v7, 8, v2
	global_store_dword v[4:5], v9, off
	v_and_or_b32 v9, v7, s7, v1
	v_bfe_u32 v7, v2, 20, 11
	v_sub_u32_e32 v8, 0x3f1, v7
	v_or_b32_e32 v1, 0x1000, v9
	v_med3_i32 v8, v8, 0, 13
	v_lshrrev_b32_e32 v10, v8, v1
	v_lshlrev_b32_e32 v8, v8, v10
	v_mul_f16_sdwa v3, v0, v3 dst_sel:DWORD dst_unused:UNUSED_PAD src0_sel:WORD_1 src1_sel:DWORD
	v_cmp_ne_u32_e32 vcc, v8, v1
	v_fma_f16 v0, v0, v12, -v3
	v_cndmask_b32_e64 v1, 0, 1, vcc
	v_cvt_f32_f16_e32 v0, v0
	v_or_b32_e32 v1, v10, v1
	v_add_u32_e32 v10, 0xfffffc10, v7
	v_lshl_or_b32 v7, v10, 12, v9
	v_cmp_gt_i32_e32 vcc, 1, v10
	v_cndmask_b32_e32 v1, v7, v1, vcc
	v_and_b32_e32 v7, 7, v1
	v_lshrrev_b32_e32 v3, 2, v1
	v_cvt_f64_f32_e32 v[0:1], v0
	v_cmp_lt_i32_e32 vcc, 5, v7
	v_cmp_eq_u32_e64 s[0:1], 3, v7
	s_or_b64 vcc, s[0:1], vcc
	v_mul_f64 v[7:8], v[0:1], s[2:3]
	v_addc_co_u32_e32 v3, vcc, 0, v3, vcc
	v_cmp_gt_i32_e32 vcc, 31, v10
	v_cndmask_b32_e32 v3, v6, v3, vcc
	v_cmp_ne_u32_e32 vcc, 0, v9
	v_cndmask_b32_e64 v0, 0, 1, vcc
	v_lshl_or_b32 v0, v0, 9, v6
	v_cmp_eq_u32_e32 vcc, s10, v10
	v_cndmask_b32_e32 v0, v3, v0, vcc
	v_lshrrev_b32_e32 v1, 16, v2
	v_and_or_b32 v2, v1, s11, v0
	v_and_or_b32 v0, v8, s6, v7
	v_cmp_ne_u32_e32 vcc, 0, v0
	v_cndmask_b32_e64 v0, 0, 1, vcc
	v_lshrrev_b32_e32 v1, 8, v8
	v_bfe_u32 v3, v8, 20, 11
	v_and_or_b32 v0, v1, s7, v0
	v_sub_u32_e32 v7, 0x3f1, v3
	v_or_b32_e32 v1, 0x1000, v0
	v_med3_i32 v7, v7, 0, 13
	v_lshrrev_b32_e32 v9, v7, v1
	v_lshlrev_b32_e32 v7, v7, v9
	v_cmp_ne_u32_e32 vcc, v7, v1
	v_cndmask_b32_e64 v1, 0, 1, vcc
	v_add_u32_e32 v3, 0xfffffc10, v3
	v_or_b32_e32 v1, v9, v1
	v_lshl_or_b32 v7, v3, 12, v0
	v_cmp_gt_i32_e32 vcc, 1, v3
	v_cndmask_b32_e32 v1, v7, v1, vcc
	v_and_b32_e32 v7, 7, v1
	v_cmp_lt_i32_e32 vcc, 5, v7
	v_cmp_eq_u32_e64 s[0:1], 3, v7
	v_lshrrev_b32_e32 v1, 2, v1
	s_or_b64 vcc, s[0:1], vcc
	v_addc_co_u32_e32 v1, vcc, 0, v1, vcc
	v_cmp_gt_i32_e32 vcc, 31, v3
	v_cndmask_b32_e32 v7, v6, v1, vcc
	v_cmp_ne_u32_e32 vcc, 0, v0
	ds_read2_b32 v[0:1], v42 offset0:54 offset1:108
	v_cndmask_b32_e64 v9, 0, 1, vcc
	v_lshl_or_b32 v9, v9, 9, v6
	v_cmp_eq_u32_e32 vcc, s10, v3
	v_cndmask_b32_e32 v3, v7, v9, vcc
	s_waitcnt lgkmcnt(0)
	v_lshrrev_b32_e32 v9, 16, v0
	v_lshrrev_b32_e32 v7, 16, v8
	v_mul_f16_sdwa v8, v46, v9 dst_sel:DWORD dst_unused:UNUSED_PAD src0_sel:WORD_1 src1_sel:DWORD
	v_fma_f16 v8, v46, v0, v8
	v_cvt_f32_f16_e32 v8, v8
	v_and_or_b32 v3, v7, s11, v3
	v_and_b32_e32 v2, 0xffff, v2
	v_lshl_or_b32 v10, v3, 16, v2
	v_cvt_f64_f32_e32 v[2:3], v8
	s_mul_i32 s0, s9, 0x6c
	s_mul_hi_u32 s4, s8, 0x6c
	s_add_i32 s4, s4, s0
	v_mul_f64 v[7:8], v[2:3], s[2:3]
	s_mul_i32 s5, s8, 0x6c
	v_mov_b32_e32 v3, s4
	v_add_co_u32_e32 v2, vcc, s5, v4
	v_addc_co_u32_e32 v3, vcc, v5, v3, vcc
	global_store_dword v[2:3], v10, off
	v_and_or_b32 v4, v8, s6, v7
	v_cmp_ne_u32_e32 vcc, 0, v4
	v_cndmask_b32_e64 v4, 0, 1, vcc
	v_lshrrev_b32_e32 v5, 8, v8
	v_and_or_b32 v7, v5, s7, v4
	v_bfe_u32 v5, v8, 20, 11
	v_sub_u32_e32 v10, 0x3f1, v5
	v_or_b32_e32 v4, 0x1000, v7
	v_med3_i32 v10, v10, 0, 13
	v_lshrrev_b32_e32 v11, v10, v4
	v_lshlrev_b32_e32 v10, v10, v11
	v_mul_f16_sdwa v0, v46, v0 dst_sel:DWORD dst_unused:UNUSED_PAD src0_sel:WORD_1 src1_sel:DWORD
	v_cmp_ne_u32_e32 vcc, v10, v4
	v_fma_f16 v0, v46, v9, -v0
	v_cndmask_b32_e64 v4, 0, 1, vcc
	v_add_u32_e32 v10, 0xfffffc10, v5
	v_cvt_f32_f16_e32 v0, v0
	v_or_b32_e32 v4, v11, v4
	v_lshl_or_b32 v5, v10, 12, v7
	v_cmp_gt_i32_e32 vcc, 1, v10
	v_cndmask_b32_e32 v4, v5, v4, vcc
	v_and_b32_e32 v5, 7, v4
	v_cmp_lt_i32_e32 vcc, 5, v5
	v_cmp_eq_u32_e64 s[0:1], 3, v5
	v_lshrrev_b32_e32 v9, 2, v4
	v_cvt_f64_f32_e32 v[4:5], v0
	s_or_b64 vcc, s[0:1], vcc
	v_addc_co_u32_e32 v0, vcc, 0, v9, vcc
	v_mul_f64 v[4:5], v[4:5], s[2:3]
	v_cmp_gt_i32_e32 vcc, 31, v10
	v_cndmask_b32_e32 v0, v6, v0, vcc
	v_cmp_ne_u32_e32 vcc, 0, v7
	v_cndmask_b32_e64 v7, 0, 1, vcc
	v_lshl_or_b32 v7, v7, 9, v6
	v_cmp_eq_u32_e32 vcc, s10, v10
	v_cndmask_b32_e32 v0, v0, v7, vcc
	v_and_or_b32 v4, v5, s6, v4
	v_lshrrev_b32_e32 v7, 16, v8
	v_cmp_ne_u32_e32 vcc, 0, v4
	v_and_or_b32 v0, v7, s11, v0
	v_cndmask_b32_e64 v4, 0, 1, vcc
	v_lshrrev_b32_e32 v7, 8, v5
	v_and_or_b32 v8, v7, s7, v4
	v_bfe_u32 v7, v5, 20, 11
	v_sub_u32_e32 v9, 0x3f1, v7
	v_or_b32_e32 v4, 0x1000, v8
	v_med3_i32 v9, v9, 0, 13
	v_lshrrev_b32_e32 v10, v9, v4
	v_lshlrev_b32_e32 v9, v9, v10
	v_cmp_ne_u32_e32 vcc, v9, v4
	v_cndmask_b32_e64 v4, 0, 1, vcc
	v_add_u32_e32 v7, 0xfffffc10, v7
	v_or_b32_e32 v4, v10, v4
	v_lshl_or_b32 v9, v7, 12, v8
	v_cmp_gt_i32_e32 vcc, 1, v7
	v_cndmask_b32_e32 v4, v9, v4, vcc
	v_and_b32_e32 v9, 7, v4
	v_cmp_lt_i32_e32 vcc, 5, v9
	v_cmp_eq_u32_e64 s[0:1], 3, v9
	v_lshrrev_b32_e32 v4, 2, v4
	s_or_b64 vcc, s[0:1], vcc
	v_addc_co_u32_e32 v9, vcc, 0, v4, vcc
	ds_read_b32 v4, v36 offset:324
	v_cmp_gt_i32_e32 vcc, 31, v7
	v_cndmask_b32_e32 v9, v6, v9, vcc
	v_cmp_ne_u32_e32 vcc, 0, v8
	ds_read_b32 v8, v42 offset:972
	s_waitcnt lgkmcnt(1)
	v_lshrrev_b32_e32 v11, 16, v4
	v_mul_f16_sdwa v12, v45, v11 dst_sel:DWORD dst_unused:UNUSED_PAD src0_sel:WORD_1 src1_sel:DWORD
	v_fma_f16 v12, v45, v4, v12
	v_cvt_f32_f16_e32 v12, v12
	v_cndmask_b32_e64 v10, 0, 1, vcc
	v_lshl_or_b32 v10, v10, 9, v6
	v_cmp_eq_u32_e32 vcc, s10, v7
	v_cndmask_b32_e32 v7, v9, v10, vcc
	v_cvt_f64_f32_e32 v[9:10], v12
	v_lshrrev_b32_e32 v5, 16, v5
	v_and_or_b32 v5, v5, s11, v7
	v_and_b32_e32 v0, 0xffff, v0
	v_mul_f64 v[9:10], v[9:10], s[2:3]
	v_lshl_or_b32 v0, v5, 16, v0
	v_mov_b32_e32 v5, s4
	v_add_co_u32_e32 v2, vcc, s5, v2
	v_addc_co_u32_e32 v3, vcc, v3, v5, vcc
	global_store_dword v[2:3], v0, off
	v_and_or_b32 v0, v10, s6, v9
	v_cmp_ne_u32_e32 vcc, 0, v0
	v_cndmask_b32_e64 v0, 0, 1, vcc
	v_lshrrev_b32_e32 v5, 8, v10
	v_bfe_u32 v7, v10, 20, 11
	v_and_or_b32 v0, v5, s7, v0
	v_sub_u32_e32 v9, 0x3f1, v7
	v_or_b32_e32 v5, 0x1000, v0
	v_med3_i32 v9, v9, 0, 13
	v_lshrrev_b32_e32 v12, v9, v5
	v_lshlrev_b32_e32 v9, v9, v12
	v_mul_f16_sdwa v4, v45, v4 dst_sel:DWORD dst_unused:UNUSED_PAD src0_sel:WORD_1 src1_sel:DWORD
	v_cmp_ne_u32_e32 vcc, v9, v5
	v_fma_f16 v4, v45, v11, -v4
	v_cndmask_b32_e64 v5, 0, 1, vcc
	v_add_u32_e32 v7, 0xfffffc10, v7
	v_cvt_f32_f16_e32 v4, v4
	v_or_b32_e32 v5, v12, v5
	v_lshl_or_b32 v9, v7, 12, v0
	v_cmp_gt_i32_e32 vcc, 1, v7
	v_cndmask_b32_e32 v5, v9, v5, vcc
	v_and_b32_e32 v9, 7, v5
	v_cmp_lt_i32_e32 vcc, 5, v9
	v_cmp_eq_u32_e64 s[0:1], 3, v9
	v_lshrrev_b32_e32 v9, 2, v5
	v_cvt_f64_f32_e32 v[4:5], v4
	s_or_b64 vcc, s[0:1], vcc
	v_addc_co_u32_e32 v9, vcc, 0, v9, vcc
	v_mul_f64 v[4:5], v[4:5], s[2:3]
	v_cmp_gt_i32_e32 vcc, 31, v7
	v_cndmask_b32_e32 v9, v6, v9, vcc
	v_cmp_ne_u32_e32 vcc, 0, v0
	v_cndmask_b32_e64 v0, 0, 1, vcc
	v_lshl_or_b32 v0, v0, 9, v6
	v_cmp_eq_u32_e32 vcc, s10, v7
	v_cndmask_b32_e32 v0, v9, v0, vcc
	v_and_or_b32 v4, v5, s6, v4
	v_lshrrev_b32_e32 v7, 16, v10
	v_cmp_ne_u32_e32 vcc, 0, v4
	v_and_or_b32 v0, v7, s11, v0
	v_cndmask_b32_e64 v4, 0, 1, vcc
	v_lshrrev_b32_e32 v7, 8, v5
	v_bfe_u32 v9, v5, 20, 11
	v_and_or_b32 v4, v7, s7, v4
	v_sub_u32_e32 v10, 0x3f1, v9
	v_or_b32_e32 v7, 0x1000, v4
	v_med3_i32 v10, v10, 0, 13
	v_lshrrev_b32_e32 v11, v10, v7
	v_lshlrev_b32_e32 v10, v10, v11
	v_cmp_ne_u32_e32 vcc, v10, v7
	v_cndmask_b32_e64 v7, 0, 1, vcc
	v_add_u32_e32 v9, 0xfffffc10, v9
	v_or_b32_e32 v7, v11, v7
	v_lshl_or_b32 v10, v9, 12, v4
	v_cmp_gt_i32_e32 vcc, 1, v9
	v_cndmask_b32_e32 v7, v10, v7, vcc
	v_and_b32_e32 v10, 7, v7
	v_lshrrev_b32_e32 v11, 16, v1
	v_cmp_lt_i32_e32 vcc, 5, v10
	v_cmp_eq_u32_e64 s[0:1], 3, v10
	v_mul_f16_sdwa v10, v44, v11 dst_sel:DWORD dst_unused:UNUSED_PAD src0_sel:WORD_1 src1_sel:DWORD
	v_fma_f16 v10, v44, v1, v10
	v_lshrrev_b32_e32 v7, 2, v7
	s_or_b64 vcc, s[0:1], vcc
	v_cvt_f32_f16_e32 v10, v10
	v_addc_co_u32_e32 v7, vcc, 0, v7, vcc
	v_cmp_gt_i32_e32 vcc, 31, v9
	v_cndmask_b32_e32 v7, v6, v7, vcc
	v_cmp_ne_u32_e32 vcc, 0, v4
	v_cndmask_b32_e64 v4, 0, 1, vcc
	v_cmp_eq_u32_e32 vcc, s10, v9
	v_cvt_f64_f32_e32 v[9:10], v10
	v_lshl_or_b32 v4, v4, 9, v6
	v_cndmask_b32_e32 v4, v7, v4, vcc
	v_lshrrev_b32_e32 v5, 16, v5
	v_and_or_b32 v7, v5, s11, v4
	v_mul_f64 v[4:5], v[9:10], s[2:3]
	v_and_b32_e32 v0, 0xffff, v0
	v_lshl_or_b32 v0, v7, 16, v0
	v_mov_b32_e32 v7, s4
	v_add_co_u32_e32 v2, vcc, s5, v2
	v_addc_co_u32_e32 v3, vcc, v3, v7, vcc
	global_store_dword v[2:3], v0, off
	v_and_or_b32 v0, v5, s6, v4
	v_cmp_ne_u32_e32 vcc, 0, v0
	v_cndmask_b32_e64 v0, 0, 1, vcc
	v_lshrrev_b32_e32 v4, 8, v5
	v_bfe_u32 v7, v5, 20, 11
	v_and_or_b32 v4, v4, s7, v0
	v_sub_u32_e32 v9, 0x3f1, v7
	v_or_b32_e32 v0, 0x1000, v4
	v_med3_i32 v9, v9, 0, 13
	v_lshrrev_b32_e32 v10, v9, v0
	v_lshlrev_b32_e32 v9, v9, v10
	v_mul_f16_sdwa v1, v44, v1 dst_sel:DWORD dst_unused:UNUSED_PAD src0_sel:WORD_1 src1_sel:DWORD
	v_cmp_ne_u32_e32 vcc, v9, v0
	v_fma_f16 v1, v44, v11, -v1
	v_cndmask_b32_e64 v0, 0, 1, vcc
	v_add_u32_e32 v7, 0xfffffc10, v7
	v_cvt_f32_f16_e32 v1, v1
	v_or_b32_e32 v0, v10, v0
	v_lshl_or_b32 v9, v7, 12, v4
	v_cmp_gt_i32_e32 vcc, 1, v7
	v_cndmask_b32_e32 v0, v9, v0, vcc
	v_and_b32_e32 v9, 7, v0
	v_cmp_lt_i32_e32 vcc, 5, v9
	v_cmp_eq_u32_e64 s[0:1], 3, v9
	v_lshrrev_b32_e32 v9, 2, v0
	v_cvt_f64_f32_e32 v[0:1], v1
	s_or_b64 vcc, s[0:1], vcc
	v_addc_co_u32_e32 v9, vcc, 0, v9, vcc
	v_mul_f64 v[0:1], v[0:1], s[2:3]
	v_cmp_gt_i32_e32 vcc, 31, v7
	v_cndmask_b32_e32 v9, v6, v9, vcc
	v_cmp_ne_u32_e32 vcc, 0, v4
	v_cndmask_b32_e64 v4, 0, 1, vcc
	v_lshl_or_b32 v4, v4, 9, v6
	v_cmp_eq_u32_e32 vcc, s10, v7
	v_cndmask_b32_e32 v4, v9, v4, vcc
	v_and_or_b32 v0, v1, s6, v0
	v_lshrrev_b32_e32 v5, 16, v5
	v_cmp_ne_u32_e32 vcc, 0, v0
	v_and_or_b32 v7, v5, s11, v4
	v_cndmask_b32_e64 v0, 0, 1, vcc
	v_lshrrev_b32_e32 v4, 8, v1
	v_bfe_u32 v5, v1, 20, 11
	v_and_or_b32 v0, v4, s7, v0
	v_sub_u32_e32 v9, 0x3f1, v5
	v_or_b32_e32 v4, 0x1000, v0
	v_med3_i32 v9, v9, 0, 13
	v_lshrrev_b32_e32 v10, v9, v4
	v_lshlrev_b32_e32 v9, v9, v10
	v_cmp_ne_u32_e32 vcc, v9, v4
	v_cndmask_b32_e64 v4, 0, 1, vcc
	v_add_u32_e32 v9, 0xfffffc10, v5
	v_or_b32_e32 v4, v10, v4
	v_lshl_or_b32 v5, v9, 12, v0
	v_cmp_gt_i32_e32 vcc, 1, v9
	v_cndmask_b32_e32 v4, v5, v4, vcc
	v_and_b32_e32 v5, 7, v4
	v_cmp_lt_i32_e32 vcc, 5, v5
	v_cmp_eq_u32_e64 s[0:1], 3, v5
	v_lshrrev_b32_e32 v4, 2, v4
	s_or_b64 vcc, s[0:1], vcc
	v_addc_co_u32_e32 v10, vcc, 0, v4, vcc
	ds_read2_b32 v[4:5], v42 offset0:135 offset1:162
	v_cmp_gt_i32_e32 vcc, 31, v9
	v_cndmask_b32_e32 v10, v6, v10, vcc
	v_cmp_ne_u32_e32 vcc, 0, v0
	v_cndmask_b32_e64 v0, 0, 1, vcc
	s_waitcnt lgkmcnt(0)
	v_lshrrev_b32_e32 v11, 16, v4
	v_mul_f16_sdwa v12, v43, v11 dst_sel:DWORD dst_unused:UNUSED_PAD src0_sel:WORD_1 src1_sel:DWORD
	v_fma_f16 v12, v43, v4, v12
	v_cvt_f32_f16_e32 v12, v12
	v_lshl_or_b32 v0, v0, 9, v6
	v_cmp_eq_u32_e32 vcc, s10, v9
	v_cndmask_b32_e32 v0, v10, v0, vcc
	v_cvt_f64_f32_e32 v[9:10], v12
	v_lshrrev_b32_e32 v1, 16, v1
	v_and_or_b32 v12, v1, s11, v0
	v_add_co_u32_e32 v2, vcc, s5, v2
	v_mul_f64 v[0:1], v[9:10], s[2:3]
	v_mov_b32_e32 v9, s4
	v_and_b32_e32 v7, 0xffff, v7
	v_addc_co_u32_e32 v3, vcc, v3, v9, vcc
	v_lshl_or_b32 v7, v12, 16, v7
	global_store_dword v[2:3], v7, off
	v_mul_f16_sdwa v4, v43, v4 dst_sel:DWORD dst_unused:UNUSED_PAD src0_sel:WORD_1 src1_sel:DWORD
	v_and_or_b32 v0, v1, s6, v0
	v_cmp_ne_u32_e32 vcc, 0, v0
	v_cndmask_b32_e64 v0, 0, 1, vcc
	v_lshrrev_b32_e32 v7, 8, v1
	v_bfe_u32 v9, v1, 20, 11
	v_and_or_b32 v0, v7, s7, v0
	v_sub_u32_e32 v10, 0x3f1, v9
	v_or_b32_e32 v7, 0x1000, v0
	v_med3_i32 v10, v10, 0, 13
	v_lshrrev_b32_e32 v12, v10, v7
	v_lshlrev_b32_e32 v10, v10, v12
	v_cmp_ne_u32_e32 vcc, v10, v7
	v_cndmask_b32_e64 v7, 0, 1, vcc
	v_fma_f16 v4, v43, v11, -v4
	v_or_b32_e32 v7, v12, v7
	v_add_u32_e32 v12, 0xfffffc10, v9
	v_cvt_f32_f16_e32 v4, v4
	v_lshl_or_b32 v9, v12, 12, v0
	v_cmp_gt_i32_e32 vcc, 1, v12
	v_cndmask_b32_e32 v7, v9, v7, vcc
	v_and_b32_e32 v9, 7, v7
	v_cmp_lt_i32_e32 vcc, 5, v9
	v_cmp_eq_u32_e64 s[0:1], 3, v9
	v_cvt_f64_f32_e32 v[9:10], v4
	v_lshrrev_b32_e32 v7, 2, v7
	s_or_b64 vcc, s[0:1], vcc
	v_addc_co_u32_e32 v4, vcc, 0, v7, vcc
	v_mul_f64 v[9:10], v[9:10], s[2:3]
	v_cmp_gt_i32_e32 vcc, 31, v12
	v_cndmask_b32_e32 v4, v6, v4, vcc
	v_cmp_ne_u32_e32 vcc, 0, v0
	v_cndmask_b32_e64 v0, 0, 1, vcc
	v_lshl_or_b32 v0, v0, 9, v6
	v_cmp_eq_u32_e32 vcc, s10, v12
	v_cndmask_b32_e32 v0, v4, v0, vcc
	v_lshrrev_b32_e32 v1, 16, v1
	v_and_or_b32 v4, v1, s11, v0
	v_and_or_b32 v0, v10, s6, v9
	v_cmp_ne_u32_e32 vcc, 0, v0
	v_cndmask_b32_e64 v0, 0, 1, vcc
	v_lshrrev_b32_e32 v1, 8, v10
	v_bfe_u32 v7, v10, 20, 11
	v_and_or_b32 v0, v1, s7, v0
	v_sub_u32_e32 v9, 0x3f1, v7
	v_or_b32_e32 v1, 0x1000, v0
	v_med3_i32 v9, v9, 0, 13
	v_lshrrev_b32_e32 v11, v9, v1
	v_lshlrev_b32_e32 v9, v9, v11
	v_cmp_ne_u32_e32 vcc, v9, v1
	v_cndmask_b32_e64 v1, 0, 1, vcc
	v_add_u32_e32 v7, 0xfffffc10, v7
	v_or_b32_e32 v1, v11, v1
	v_lshl_or_b32 v9, v7, 12, v0
	v_cmp_gt_i32_e32 vcc, 1, v7
	v_cndmask_b32_e32 v1, v9, v1, vcc
	v_and_b32_e32 v9, 7, v1
	v_cmp_lt_i32_e32 vcc, 5, v9
	v_cmp_eq_u32_e64 s[0:1], 3, v9
	v_lshrrev_b32_e32 v9, 16, v5
	v_lshrrev_b32_e32 v1, 2, v1
	s_or_b64 vcc, s[0:1], vcc
	v_mul_f16_sdwa v11, v41, v9 dst_sel:DWORD dst_unused:UNUSED_PAD src0_sel:WORD_1 src1_sel:DWORD
	v_addc_co_u32_e32 v1, vcc, 0, v1, vcc
	v_fma_f16 v11, v41, v5, v11
	v_cmp_gt_i32_e32 vcc, 31, v7
	v_cvt_f32_f16_e32 v11, v11
	v_cndmask_b32_e32 v1, v6, v1, vcc
	v_cmp_ne_u32_e32 vcc, 0, v0
	v_cndmask_b32_e64 v0, 0, 1, vcc
	v_lshl_or_b32 v0, v0, 9, v6
	v_cmp_eq_u32_e32 vcc, s10, v7
	v_cndmask_b32_e32 v7, v1, v0, vcc
	v_cvt_f64_f32_e32 v[0:1], v11
	v_lshrrev_b32_e32 v10, 16, v10
	v_and_or_b32 v7, v10, s11, v7
	v_and_b32_e32 v4, 0xffff, v4
	v_mul_f64 v[0:1], v[0:1], s[2:3]
	v_lshl_or_b32 v4, v7, 16, v4
	v_mov_b32_e32 v7, s4
	v_add_co_u32_e32 v2, vcc, s5, v2
	v_addc_co_u32_e32 v3, vcc, v3, v7, vcc
	global_store_dword v[2:3], v4, off
	v_and_or_b32 v0, v1, s6, v0
	v_cmp_ne_u32_e32 vcc, 0, v0
	v_cndmask_b32_e64 v0, 0, 1, vcc
	v_lshrrev_b32_e32 v4, 8, v1
	v_bfe_u32 v7, v1, 20, 11
	v_and_or_b32 v0, v4, s7, v0
	v_sub_u32_e32 v10, 0x3f1, v7
	v_or_b32_e32 v4, 0x1000, v0
	v_med3_i32 v10, v10, 0, 13
	v_lshrrev_b32_e32 v11, v10, v4
	v_mul_f16_sdwa v5, v41, v5 dst_sel:DWORD dst_unused:UNUSED_PAD src0_sel:WORD_1 src1_sel:DWORD
	v_lshlrev_b32_e32 v10, v10, v11
	v_fma_f16 v5, v41, v9, -v5
	v_cmp_ne_u32_e32 vcc, v10, v4
	v_cvt_f32_f16_e32 v5, v5
	v_cndmask_b32_e64 v4, 0, 1, vcc
	v_add_u32_e32 v7, 0xfffffc10, v7
	v_or_b32_e32 v4, v11, v4
	v_lshl_or_b32 v10, v7, 12, v0
	v_cmp_gt_i32_e32 vcc, 1, v7
	v_cndmask_b32_e32 v4, v10, v4, vcc
	v_and_b32_e32 v10, 7, v4
	v_lshrrev_b32_e32 v9, 2, v4
	v_cvt_f64_f32_e32 v[4:5], v5
	v_cmp_lt_i32_e32 vcc, 5, v10
	v_cmp_eq_u32_e64 s[0:1], 3, v10
	s_or_b64 vcc, s[0:1], vcc
	v_mul_f64 v[4:5], v[4:5], s[2:3]
	v_addc_co_u32_e32 v9, vcc, 0, v9, vcc
	v_cmp_gt_i32_e32 vcc, 31, v7
	v_cndmask_b32_e32 v9, v6, v9, vcc
	v_cmp_ne_u32_e32 vcc, 0, v0
	v_cndmask_b32_e64 v0, 0, 1, vcc
	v_lshl_or_b32 v0, v0, 9, v6
	v_cmp_eq_u32_e32 vcc, s10, v7
	v_cndmask_b32_e32 v0, v9, v0, vcc
	v_lshrrev_b32_e32 v1, 16, v1
	v_and_or_b32 v7, v1, s11, v0
	v_and_or_b32 v0, v5, s6, v4
	v_cmp_ne_u32_e32 vcc, 0, v0
	v_cndmask_b32_e64 v0, 0, 1, vcc
	v_lshrrev_b32_e32 v1, 8, v5
	v_and_or_b32 v4, v1, s7, v0
	v_bfe_u32 v1, v5, 20, 11
	v_sub_u32_e32 v9, 0x3f1, v1
	v_or_b32_e32 v0, 0x1000, v4
	v_med3_i32 v9, v9, 0, 13
	v_lshrrev_b32_e32 v10, v9, v0
	v_lshlrev_b32_e32 v9, v9, v10
	v_cmp_ne_u32_e32 vcc, v9, v0
	v_cndmask_b32_e64 v0, 0, 1, vcc
	v_add_u32_e32 v9, 0xfffffc10, v1
	v_or_b32_e32 v0, v10, v0
	v_lshl_or_b32 v1, v9, 12, v4
	v_cmp_gt_i32_e32 vcc, 1, v9
	v_cndmask_b32_e32 v0, v1, v0, vcc
	v_and_b32_e32 v1, 7, v0
	v_cmp_lt_i32_e32 vcc, 5, v1
	v_cmp_eq_u32_e64 s[0:1], 3, v1
	v_lshrrev_b32_e32 v0, 2, v0
	s_or_b64 vcc, s[0:1], vcc
	v_addc_co_u32_e32 v10, vcc, 0, v0, vcc
	ds_read2_b32 v[0:1], v42 offset0:189 offset1:216
	v_cmp_gt_i32_e32 vcc, 31, v9
	v_cndmask_b32_e32 v10, v6, v10, vcc
	v_cmp_ne_u32_e32 vcc, 0, v4
	v_cndmask_b32_e64 v4, 0, 1, vcc
	s_waitcnt lgkmcnt(0)
	v_lshrrev_b32_e32 v11, 16, v0
	v_mul_f16_sdwa v12, v40, v11 dst_sel:DWORD dst_unused:UNUSED_PAD src0_sel:WORD_1 src1_sel:DWORD
	v_fma_f16 v12, v40, v0, v12
	v_cvt_f32_f16_e32 v12, v12
	v_lshl_or_b32 v4, v4, 9, v6
	v_cmp_eq_u32_e32 vcc, s10, v9
	v_cndmask_b32_e32 v4, v10, v4, vcc
	v_cvt_f64_f32_e32 v[9:10], v12
	v_lshrrev_b32_e32 v5, 16, v5
	v_and_or_b32 v12, v5, s11, v4
	v_add_co_u32_e32 v2, vcc, s5, v2
	v_mul_f64 v[4:5], v[9:10], s[2:3]
	v_mov_b32_e32 v9, s4
	v_and_b32_e32 v7, 0xffff, v7
	v_addc_co_u32_e32 v3, vcc, v3, v9, vcc
	v_lshl_or_b32 v7, v12, 16, v7
	global_store_dword v[2:3], v7, off
	v_mul_f16_sdwa v0, v40, v0 dst_sel:DWORD dst_unused:UNUSED_PAD src0_sel:WORD_1 src1_sel:DWORD
	v_and_or_b32 v4, v5, s6, v4
	v_cmp_ne_u32_e32 vcc, 0, v4
	v_cndmask_b32_e64 v4, 0, 1, vcc
	v_lshrrev_b32_e32 v7, 8, v5
	v_bfe_u32 v9, v5, 20, 11
	v_and_or_b32 v4, v7, s7, v4
	v_sub_u32_e32 v10, 0x3f1, v9
	v_or_b32_e32 v7, 0x1000, v4
	v_med3_i32 v10, v10, 0, 13
	v_lshrrev_b32_e32 v12, v10, v7
	v_lshlrev_b32_e32 v10, v10, v12
	v_cmp_ne_u32_e32 vcc, v10, v7
	v_cndmask_b32_e64 v7, 0, 1, vcc
	v_fma_f16 v0, v40, v11, -v0
	v_or_b32_e32 v7, v12, v7
	v_add_u32_e32 v12, 0xfffffc10, v9
	v_cvt_f32_f16_e32 v0, v0
	v_lshl_or_b32 v9, v12, 12, v4
	v_cmp_gt_i32_e32 vcc, 1, v12
	v_cndmask_b32_e32 v7, v9, v7, vcc
	v_and_b32_e32 v9, 7, v7
	v_cmp_lt_i32_e32 vcc, 5, v9
	v_cmp_eq_u32_e64 s[0:1], 3, v9
	v_cvt_f64_f32_e32 v[9:10], v0
	v_lshrrev_b32_e32 v7, 2, v7
	s_or_b64 vcc, s[0:1], vcc
	v_addc_co_u32_e32 v0, vcc, 0, v7, vcc
	v_mul_f64 v[9:10], v[9:10], s[2:3]
	v_cmp_gt_i32_e32 vcc, 31, v12
	v_cndmask_b32_e32 v0, v6, v0, vcc
	v_cmp_ne_u32_e32 vcc, 0, v4
	v_cndmask_b32_e64 v4, 0, 1, vcc
	v_lshl_or_b32 v4, v4, 9, v6
	v_cmp_eq_u32_e32 vcc, s10, v12
	v_cndmask_b32_e32 v0, v0, v4, vcc
	v_lshrrev_b32_e32 v4, 16, v5
	v_and_or_b32 v0, v4, s11, v0
	v_and_or_b32 v4, v10, s6, v9
	v_cmp_ne_u32_e32 vcc, 0, v4
	v_cndmask_b32_e64 v4, 0, 1, vcc
	v_lshrrev_b32_e32 v5, 8, v10
	v_bfe_u32 v7, v10, 20, 11
	v_and_or_b32 v4, v5, s7, v4
	v_sub_u32_e32 v9, 0x3f1, v7
	v_or_b32_e32 v5, 0x1000, v4
	v_med3_i32 v9, v9, 0, 13
	v_lshrrev_b32_e32 v11, v9, v5
	v_lshlrev_b32_e32 v9, v9, v11
	v_cmp_ne_u32_e32 vcc, v9, v5
	v_cndmask_b32_e64 v5, 0, 1, vcc
	v_add_u32_e32 v7, 0xfffffc10, v7
	v_or_b32_e32 v5, v11, v5
	v_lshl_or_b32 v9, v7, 12, v4
	v_cmp_gt_i32_e32 vcc, 1, v7
	v_cndmask_b32_e32 v5, v9, v5, vcc
	v_and_b32_e32 v9, 7, v5
	v_cmp_lt_i32_e32 vcc, 5, v9
	v_cmp_eq_u32_e64 s[0:1], 3, v9
	v_lshrrev_b32_e32 v9, 16, v1
	v_lshrrev_b32_e32 v5, 2, v5
	s_or_b64 vcc, s[0:1], vcc
	v_mul_f16_sdwa v11, v39, v9 dst_sel:DWORD dst_unused:UNUSED_PAD src0_sel:WORD_1 src1_sel:DWORD
	v_addc_co_u32_e32 v5, vcc, 0, v5, vcc
	v_fma_f16 v11, v39, v1, v11
	v_cmp_gt_i32_e32 vcc, 31, v7
	v_cvt_f32_f16_e32 v11, v11
	v_cndmask_b32_e32 v5, v6, v5, vcc
	v_cmp_ne_u32_e32 vcc, 0, v4
	v_cndmask_b32_e64 v4, 0, 1, vcc
	v_lshl_or_b32 v4, v4, 9, v6
	v_cmp_eq_u32_e32 vcc, s10, v7
	v_cndmask_b32_e32 v7, v5, v4, vcc
	v_cvt_f64_f32_e32 v[4:5], v11
	v_lshrrev_b32_e32 v10, 16, v10
	v_and_or_b32 v7, v10, s11, v7
	v_and_b32_e32 v0, 0xffff, v0
	v_mul_f64 v[4:5], v[4:5], s[2:3]
	v_lshl_or_b32 v0, v7, 16, v0
	v_mov_b32_e32 v7, s4
	v_add_co_u32_e32 v2, vcc, s5, v2
	v_addc_co_u32_e32 v3, vcc, v3, v7, vcc
	global_store_dword v[2:3], v0, off
	v_and_or_b32 v0, v5, s6, v4
	v_cmp_ne_u32_e32 vcc, 0, v0
	v_cndmask_b32_e64 v0, 0, 1, vcc
	v_lshrrev_b32_e32 v4, 8, v5
	v_bfe_u32 v7, v5, 20, 11
	v_and_or_b32 v4, v4, s7, v0
	v_sub_u32_e32 v10, 0x3f1, v7
	v_or_b32_e32 v0, 0x1000, v4
	v_med3_i32 v10, v10, 0, 13
	v_lshrrev_b32_e32 v11, v10, v0
	v_mul_f16_sdwa v1, v39, v1 dst_sel:DWORD dst_unused:UNUSED_PAD src0_sel:WORD_1 src1_sel:DWORD
	v_lshlrev_b32_e32 v10, v10, v11
	v_fma_f16 v1, v39, v9, -v1
	v_cmp_ne_u32_e32 vcc, v10, v0
	v_cvt_f32_f16_e32 v1, v1
	v_cndmask_b32_e64 v0, 0, 1, vcc
	v_add_u32_e32 v7, 0xfffffc10, v7
	v_or_b32_e32 v0, v11, v0
	v_lshl_or_b32 v10, v7, 12, v4
	v_cmp_gt_i32_e32 vcc, 1, v7
	v_cndmask_b32_e32 v0, v10, v0, vcc
	v_and_b32_e32 v10, 7, v0
	v_lshrrev_b32_e32 v9, 2, v0
	v_cvt_f64_f32_e32 v[0:1], v1
	v_cmp_lt_i32_e32 vcc, 5, v10
	v_cmp_eq_u32_e64 s[0:1], 3, v10
	s_or_b64 vcc, s[0:1], vcc
	v_mul_f64 v[0:1], v[0:1], s[2:3]
	v_addc_co_u32_e32 v9, vcc, 0, v9, vcc
	v_cmp_gt_i32_e32 vcc, 31, v7
	v_cndmask_b32_e32 v9, v6, v9, vcc
	v_cmp_ne_u32_e32 vcc, 0, v4
	v_cndmask_b32_e64 v4, 0, 1, vcc
	v_lshl_or_b32 v4, v4, 9, v6
	v_cmp_eq_u32_e32 vcc, s10, v7
	v_and_or_b32 v0, v1, s6, v0
	v_cndmask_b32_e32 v4, v9, v4, vcc
	v_lshrrev_b32_e32 v5, 16, v5
	v_cmp_ne_u32_e32 vcc, 0, v0
	v_and_or_b32 v7, v5, s11, v4
	v_cndmask_b32_e64 v0, 0, 1, vcc
	v_lshrrev_b32_e32 v4, 8, v1
	v_bfe_u32 v5, v1, 20, 11
	v_and_or_b32 v0, v4, s7, v0
	v_sub_u32_e32 v9, 0x3f1, v5
	v_or_b32_e32 v4, 0x1000, v0
	v_med3_i32 v9, v9, 0, 13
	v_lshrrev_b32_e32 v10, v9, v4
	v_lshlrev_b32_e32 v9, v9, v10
	v_cmp_ne_u32_e32 vcc, v9, v4
	v_cndmask_b32_e64 v4, 0, 1, vcc
	v_add_u32_e32 v5, 0xfffffc10, v5
	v_or_b32_e32 v4, v10, v4
	v_lshl_or_b32 v9, v5, 12, v0
	v_cmp_gt_i32_e32 vcc, 1, v5
	v_cndmask_b32_e32 v4, v9, v4, vcc
	v_and_b32_e32 v9, 7, v4
	v_cmp_lt_i32_e32 vcc, 5, v9
	v_cmp_eq_u32_e64 s[0:1], 3, v9
	v_lshrrev_b32_e32 v9, 16, v8
	v_lshrrev_b32_e32 v4, 2, v4
	s_or_b64 vcc, s[0:1], vcc
	v_mul_f16_sdwa v10, v38, v9 dst_sel:DWORD dst_unused:UNUSED_PAD src0_sel:WORD_1 src1_sel:DWORD
	v_addc_co_u32_e32 v4, vcc, 0, v4, vcc
	v_fma_f16 v10, v38, v8, v10
	v_cmp_gt_i32_e32 vcc, 31, v5
	v_cvt_f32_f16_e32 v10, v10
	v_cndmask_b32_e32 v4, v6, v4, vcc
	v_cmp_ne_u32_e32 vcc, 0, v0
	v_cndmask_b32_e64 v0, 0, 1, vcc
	v_lshl_or_b32 v0, v0, 9, v6
	v_cmp_eq_u32_e32 vcc, s10, v5
	v_cndmask_b32_e32 v0, v4, v0, vcc
	v_cvt_f64_f32_e32 v[4:5], v10
	v_lshrrev_b32_e32 v1, 16, v1
	v_and_or_b32 v10, v1, s11, v0
	v_add_co_u32_e32 v2, vcc, s5, v2
	v_mul_f64 v[0:1], v[4:5], s[2:3]
	v_mov_b32_e32 v5, s4
	v_and_b32_e32 v7, 0xffff, v7
	v_addc_co_u32_e32 v3, vcc, v3, v5, vcc
	v_lshl_or_b32 v4, v10, 16, v7
	global_store_dword v[2:3], v4, off
	v_mul_f16_sdwa v8, v38, v8 dst_sel:DWORD dst_unused:UNUSED_PAD src0_sel:WORD_1 src1_sel:DWORD
	v_and_or_b32 v0, v1, s6, v0
	v_cmp_ne_u32_e32 vcc, 0, v0
	v_cndmask_b32_e64 v0, 0, 1, vcc
	v_lshrrev_b32_e32 v4, 8, v1
	v_bfe_u32 v5, v1, 20, 11
	v_and_or_b32 v0, v4, s7, v0
	v_sub_u32_e32 v7, 0x3f1, v5
	v_or_b32_e32 v4, 0x1000, v0
	v_med3_i32 v7, v7, 0, 13
	v_lshrrev_b32_e32 v10, v7, v4
	v_lshlrev_b32_e32 v7, v7, v10
	v_cmp_ne_u32_e32 vcc, v7, v4
	v_fma_f16 v8, v38, v9, -v8
	v_cndmask_b32_e64 v4, 0, 1, vcc
	v_add_u32_e32 v7, 0xfffffc10, v5
	v_cvt_f32_f16_e32 v8, v8
	v_or_b32_e32 v4, v10, v4
	v_lshl_or_b32 v5, v7, 12, v0
	v_cmp_gt_i32_e32 vcc, 1, v7
	v_cndmask_b32_e32 v4, v5, v4, vcc
	v_and_b32_e32 v5, 7, v4
	v_cmp_lt_i32_e32 vcc, 5, v5
	v_cmp_eq_u32_e64 s[0:1], 3, v5
	v_lshrrev_b32_e32 v9, 2, v4
	v_cvt_f64_f32_e32 v[4:5], v8
	s_or_b64 vcc, s[0:1], vcc
	v_addc_co_u32_e32 v8, vcc, 0, v9, vcc
	v_mul_f64 v[4:5], v[4:5], s[2:3]
	v_cmp_gt_i32_e32 vcc, 31, v7
	v_cndmask_b32_e32 v8, v6, v8, vcc
	v_cmp_ne_u32_e32 vcc, 0, v0
	v_cndmask_b32_e64 v0, 0, 1, vcc
	v_lshl_or_b32 v0, v0, 9, v6
	v_cmp_eq_u32_e32 vcc, s10, v7
	v_cndmask_b32_e32 v0, v8, v0, vcc
	v_lshrrev_b32_e32 v1, 16, v1
	v_and_or_b32 v0, v1, s11, v0
	v_and_or_b32 v1, v5, s6, v4
	v_cmp_ne_u32_e32 vcc, 0, v1
	v_cndmask_b32_e64 v1, 0, 1, vcc
	v_lshrrev_b32_e32 v4, 8, v5
	v_bfe_u32 v7, v5, 20, 11
	v_and_or_b32 v1, v4, s7, v1
	v_sub_u32_e32 v8, 0x3f1, v7
	v_or_b32_e32 v4, 0x1000, v1
	v_med3_i32 v8, v8, 0, 13
	v_lshrrev_b32_e32 v9, v8, v4
	v_lshlrev_b32_e32 v8, v8, v9
	v_cmp_ne_u32_e32 vcc, v8, v4
	v_cndmask_b32_e64 v4, 0, 1, vcc
	v_add_u32_e32 v7, 0xfffffc10, v7
	v_or_b32_e32 v4, v9, v4
	v_lshl_or_b32 v8, v7, 12, v1
	v_cmp_gt_i32_e32 vcc, 1, v7
	v_cndmask_b32_e32 v4, v8, v4, vcc
	v_and_b32_e32 v8, 7, v4
	v_cmp_lt_i32_e32 vcc, 5, v8
	v_cmp_eq_u32_e64 s[0:1], 3, v8
	v_lshrrev_b32_e32 v4, 2, v4
	s_or_b64 vcc, s[0:1], vcc
	v_addc_co_u32_e32 v4, vcc, 0, v4, vcc
	v_cmp_gt_i32_e32 vcc, 31, v7
	v_cndmask_b32_e32 v4, v6, v4, vcc
	v_cmp_ne_u32_e32 vcc, 0, v1
	v_cndmask_b32_e64 v1, 0, 1, vcc
	v_lshl_or_b32 v1, v1, 9, v6
	v_cmp_eq_u32_e32 vcc, s10, v7
	v_cndmask_b32_e32 v1, v4, v1, vcc
	v_lshrrev_b32_e32 v4, 16, v5
	v_and_or_b32 v1, v4, s11, v1
	v_and_b32_e32 v0, 0xffff, v0
	v_lshl_or_b32 v4, v1, 16, v0
	v_mov_b32_e32 v1, s4
	v_add_co_u32_e32 v0, vcc, s5, v2
	v_addc_co_u32_e32 v1, vcc, v3, v1, vcc
	global_store_dword v[0:1], v4, off
.LBB0_26:
	s_endpgm
	.section	.rodata,"a",@progbits
	.p2align	6, 0x0
	.amdhsa_kernel bluestein_single_fwd_len270_dim1_half_op_CI_CI
		.amdhsa_group_segment_fixed_size 4320
		.amdhsa_private_segment_fixed_size 0
		.amdhsa_kernarg_size 104
		.amdhsa_user_sgpr_count 6
		.amdhsa_user_sgpr_private_segment_buffer 1
		.amdhsa_user_sgpr_dispatch_ptr 0
		.amdhsa_user_sgpr_queue_ptr 0
		.amdhsa_user_sgpr_kernarg_segment_ptr 1
		.amdhsa_user_sgpr_dispatch_id 0
		.amdhsa_user_sgpr_flat_scratch_init 0
		.amdhsa_user_sgpr_private_segment_size 0
		.amdhsa_uses_dynamic_stack 0
		.amdhsa_system_sgpr_private_segment_wavefront_offset 0
		.amdhsa_system_sgpr_workgroup_id_x 1
		.amdhsa_system_sgpr_workgroup_id_y 0
		.amdhsa_system_sgpr_workgroup_id_z 0
		.amdhsa_system_sgpr_workgroup_info 0
		.amdhsa_system_vgpr_workitem_id 0
		.amdhsa_next_free_vgpr 82
		.amdhsa_next_free_sgpr 20
		.amdhsa_reserve_vcc 1
		.amdhsa_reserve_flat_scratch 0
		.amdhsa_float_round_mode_32 0
		.amdhsa_float_round_mode_16_64 0
		.amdhsa_float_denorm_mode_32 3
		.amdhsa_float_denorm_mode_16_64 3
		.amdhsa_dx10_clamp 1
		.amdhsa_ieee_mode 1
		.amdhsa_fp16_overflow 0
		.amdhsa_exception_fp_ieee_invalid_op 0
		.amdhsa_exception_fp_denorm_src 0
		.amdhsa_exception_fp_ieee_div_zero 0
		.amdhsa_exception_fp_ieee_overflow 0
		.amdhsa_exception_fp_ieee_underflow 0
		.amdhsa_exception_fp_ieee_inexact 0
		.amdhsa_exception_int_div_zero 0
	.end_amdhsa_kernel
	.text
.Lfunc_end0:
	.size	bluestein_single_fwd_len270_dim1_half_op_CI_CI, .Lfunc_end0-bluestein_single_fwd_len270_dim1_half_op_CI_CI
                                        ; -- End function
	.section	.AMDGPU.csdata,"",@progbits
; Kernel info:
; codeLenInByte = 15396
; NumSgprs: 24
; NumVgprs: 82
; ScratchSize: 0
; MemoryBound: 0
; FloatMode: 240
; IeeeMode: 1
; LDSByteSize: 4320 bytes/workgroup (compile time only)
; SGPRBlocks: 2
; VGPRBlocks: 20
; NumSGPRsForWavesPerEU: 24
; NumVGPRsForWavesPerEU: 82
; Occupancy: 3
; WaveLimiterHint : 1
; COMPUTE_PGM_RSRC2:SCRATCH_EN: 0
; COMPUTE_PGM_RSRC2:USER_SGPR: 6
; COMPUTE_PGM_RSRC2:TRAP_HANDLER: 0
; COMPUTE_PGM_RSRC2:TGID_X_EN: 1
; COMPUTE_PGM_RSRC2:TGID_Y_EN: 0
; COMPUTE_PGM_RSRC2:TGID_Z_EN: 0
; COMPUTE_PGM_RSRC2:TIDIG_COMP_CNT: 0
	.type	__hip_cuid_69655e0f1b768e02,@object ; @__hip_cuid_69655e0f1b768e02
	.section	.bss,"aw",@nobits
	.globl	__hip_cuid_69655e0f1b768e02
__hip_cuid_69655e0f1b768e02:
	.byte	0                               ; 0x0
	.size	__hip_cuid_69655e0f1b768e02, 1

	.ident	"AMD clang version 19.0.0git (https://github.com/RadeonOpenCompute/llvm-project roc-6.4.0 25133 c7fe45cf4b819c5991fe208aaa96edf142730f1d)"
	.section	".note.GNU-stack","",@progbits
	.addrsig
	.addrsig_sym __hip_cuid_69655e0f1b768e02
	.amdgpu_metadata
---
amdhsa.kernels:
  - .args:
      - .actual_access:  read_only
        .address_space:  global
        .offset:         0
        .size:           8
        .value_kind:     global_buffer
      - .actual_access:  read_only
        .address_space:  global
        .offset:         8
        .size:           8
        .value_kind:     global_buffer
      - .actual_access:  read_only
        .address_space:  global
        .offset:         16
        .size:           8
        .value_kind:     global_buffer
      - .actual_access:  read_only
        .address_space:  global
        .offset:         24
        .size:           8
        .value_kind:     global_buffer
      - .actual_access:  read_only
        .address_space:  global
        .offset:         32
        .size:           8
        .value_kind:     global_buffer
      - .offset:         40
        .size:           8
        .value_kind:     by_value
      - .address_space:  global
        .offset:         48
        .size:           8
        .value_kind:     global_buffer
      - .address_space:  global
        .offset:         56
        .size:           8
        .value_kind:     global_buffer
      - .address_space:  global
        .offset:         64
        .size:           8
        .value_kind:     global_buffer
      - .address_space:  global
        .offset:         72
        .size:           8
        .value_kind:     global_buffer
      - .offset:         80
        .size:           4
        .value_kind:     by_value
      - .address_space:  global
        .offset:         88
        .size:           8
        .value_kind:     global_buffer
      - .address_space:  global
        .offset:         96
        .size:           8
        .value_kind:     global_buffer
    .group_segment_fixed_size: 4320
    .kernarg_segment_align: 8
    .kernarg_segment_size: 104
    .language:       OpenCL C
    .language_version:
      - 2
      - 0
    .max_flat_workgroup_size: 108
    .name:           bluestein_single_fwd_len270_dim1_half_op_CI_CI
    .private_segment_fixed_size: 0
    .sgpr_count:     24
    .sgpr_spill_count: 0
    .symbol:         bluestein_single_fwd_len270_dim1_half_op_CI_CI.kd
    .uniform_work_group_size: 1
    .uses_dynamic_stack: false
    .vgpr_count:     82
    .vgpr_spill_count: 0
    .wavefront_size: 64
amdhsa.target:   amdgcn-amd-amdhsa--gfx906
amdhsa.version:
  - 1
  - 2
...

	.end_amdgpu_metadata
